;; amdgpu-corpus repo=ROCm/rocFFT kind=compiled arch=gfx1201 opt=O3
	.text
	.amdgcn_target "amdgcn-amd-amdhsa--gfx1201"
	.amdhsa_code_object_version 6
	.protected	fft_rtc_back_len1680_factors_2_2_2_2_3_7_5_wgs_112_tpt_112_halfLds_half_op_CI_CI_unitstride_sbrr_C2R_dirReg ; -- Begin function fft_rtc_back_len1680_factors_2_2_2_2_3_7_5_wgs_112_tpt_112_halfLds_half_op_CI_CI_unitstride_sbrr_C2R_dirReg
	.globl	fft_rtc_back_len1680_factors_2_2_2_2_3_7_5_wgs_112_tpt_112_halfLds_half_op_CI_CI_unitstride_sbrr_C2R_dirReg
	.p2align	8
	.type	fft_rtc_back_len1680_factors_2_2_2_2_3_7_5_wgs_112_tpt_112_halfLds_half_op_CI_CI_unitstride_sbrr_C2R_dirReg,@function
fft_rtc_back_len1680_factors_2_2_2_2_3_7_5_wgs_112_tpt_112_halfLds_half_op_CI_CI_unitstride_sbrr_C2R_dirReg: ; @fft_rtc_back_len1680_factors_2_2_2_2_3_7_5_wgs_112_tpt_112_halfLds_half_op_CI_CI_unitstride_sbrr_C2R_dirReg
; %bb.0:
	s_clause 0x2
	s_load_b128 s[8:11], s[0:1], 0x0
	s_load_b128 s[4:7], s[0:1], 0x58
	;; [unrolled: 1-line block ×3, first 2 shown]
	v_mul_u32_u24_e32 v1, 0x24a, v0
	v_mov_b32_e32 v3, 0
	v_mov_b32_e32 v7, 0
	;; [unrolled: 1-line block ×3, first 2 shown]
	s_delay_alu instid0(VALU_DEP_4) | instskip(NEXT) | instid1(VALU_DEP_1)
	v_lshrrev_b32_e32 v1, 16, v1
	v_dual_mov_b32 v10, v3 :: v_dual_add_nc_u32 v9, ttmp9, v1
	s_wait_kmcnt 0x0
	v_cmp_lt_u64_e64 s2, s[10:11], 2
	s_delay_alu instid0(VALU_DEP_1)
	s_and_b32 vcc_lo, exec_lo, s2
	s_cbranch_vccnz .LBB0_8
; %bb.1:
	s_load_b64 s[2:3], s[0:1], 0x10
	v_mov_b32_e32 v7, 0
	v_mov_b32_e32 v8, 0
	s_delay_alu instid0(VALU_DEP_2)
	v_mov_b32_e32 v1, v7
	s_add_nc_u64 s[16:17], s[14:15], 8
	s_add_nc_u64 s[18:19], s[12:13], 8
	s_mov_b64 s[20:21], 1
	v_mov_b32_e32 v2, v8
	s_wait_kmcnt 0x0
	s_add_nc_u64 s[22:23], s[2:3], 8
	s_mov_b32 s3, 0
.LBB0_2:                                ; =>This Inner Loop Header: Depth=1
	s_load_b64 s[24:25], s[22:23], 0x0
                                        ; implicit-def: $vgpr5_vgpr6
	s_mov_b32 s2, exec_lo
	s_wait_kmcnt 0x0
	v_or_b32_e32 v4, s25, v10
	s_delay_alu instid0(VALU_DEP_1)
	v_cmpx_ne_u64_e32 0, v[3:4]
	s_wait_alu 0xfffe
	s_xor_b32 s26, exec_lo, s2
	s_cbranch_execz .LBB0_4
; %bb.3:                                ;   in Loop: Header=BB0_2 Depth=1
	s_cvt_f32_u32 s2, s24
	s_cvt_f32_u32 s27, s25
	s_sub_nc_u64 s[30:31], 0, s[24:25]
	s_wait_alu 0xfffe
	s_delay_alu instid0(SALU_CYCLE_1) | instskip(SKIP_1) | instid1(SALU_CYCLE_2)
	s_fmamk_f32 s2, s27, 0x4f800000, s2
	s_wait_alu 0xfffe
	v_s_rcp_f32 s2, s2
	s_delay_alu instid0(TRANS32_DEP_1) | instskip(SKIP_1) | instid1(SALU_CYCLE_2)
	s_mul_f32 s2, s2, 0x5f7ffffc
	s_wait_alu 0xfffe
	s_mul_f32 s27, s2, 0x2f800000
	s_wait_alu 0xfffe
	s_delay_alu instid0(SALU_CYCLE_2) | instskip(SKIP_1) | instid1(SALU_CYCLE_2)
	s_trunc_f32 s27, s27
	s_wait_alu 0xfffe
	s_fmamk_f32 s2, s27, 0xcf800000, s2
	s_cvt_u32_f32 s29, s27
	s_wait_alu 0xfffe
	s_delay_alu instid0(SALU_CYCLE_1) | instskip(SKIP_1) | instid1(SALU_CYCLE_2)
	s_cvt_u32_f32 s28, s2
	s_wait_alu 0xfffe
	s_mul_u64 s[34:35], s[30:31], s[28:29]
	s_wait_alu 0xfffe
	s_mul_hi_u32 s37, s28, s35
	s_mul_i32 s36, s28, s35
	s_mul_hi_u32 s2, s28, s34
	s_mul_i32 s33, s29, s34
	s_wait_alu 0xfffe
	s_add_nc_u64 s[36:37], s[2:3], s[36:37]
	s_mul_hi_u32 s27, s29, s34
	s_mul_hi_u32 s38, s29, s35
	s_add_co_u32 s2, s36, s33
	s_wait_alu 0xfffe
	s_add_co_ci_u32 s2, s37, s27
	s_mul_i32 s34, s29, s35
	s_add_co_ci_u32 s35, s38, 0
	s_wait_alu 0xfffe
	s_add_nc_u64 s[34:35], s[2:3], s[34:35]
	s_wait_alu 0xfffe
	v_add_co_u32 v4, s2, s28, s34
	s_delay_alu instid0(VALU_DEP_1) | instskip(SKIP_1) | instid1(VALU_DEP_1)
	s_cmp_lg_u32 s2, 0
	s_add_co_ci_u32 s29, s29, s35
	v_readfirstlane_b32 s28, v4
	s_wait_alu 0xfffe
	s_delay_alu instid0(VALU_DEP_1)
	s_mul_u64 s[30:31], s[30:31], s[28:29]
	s_wait_alu 0xfffe
	s_mul_hi_u32 s35, s28, s31
	s_mul_i32 s34, s28, s31
	s_mul_hi_u32 s2, s28, s30
	s_mul_i32 s33, s29, s30
	s_wait_alu 0xfffe
	s_add_nc_u64 s[34:35], s[2:3], s[34:35]
	s_mul_hi_u32 s27, s29, s30
	s_mul_hi_u32 s28, s29, s31
	s_wait_alu 0xfffe
	s_add_co_u32 s2, s34, s33
	s_add_co_ci_u32 s2, s35, s27
	s_mul_i32 s30, s29, s31
	s_add_co_ci_u32 s31, s28, 0
	s_wait_alu 0xfffe
	s_add_nc_u64 s[30:31], s[2:3], s[30:31]
	s_wait_alu 0xfffe
	v_add_co_u32 v6, s2, v4, s30
	s_delay_alu instid0(VALU_DEP_1) | instskip(SKIP_1) | instid1(VALU_DEP_1)
	s_cmp_lg_u32 s2, 0
	s_add_co_ci_u32 s2, s29, s31
	v_mul_hi_u32 v15, v9, v6
	s_wait_alu 0xfffe
	v_mad_co_u64_u32 v[4:5], null, v9, s2, 0
	v_mad_co_u64_u32 v[11:12], null, v10, v6, 0
	;; [unrolled: 1-line block ×3, first 2 shown]
	s_delay_alu instid0(VALU_DEP_3) | instskip(SKIP_1) | instid1(VALU_DEP_4)
	v_add_co_u32 v4, vcc_lo, v15, v4
	s_wait_alu 0xfffd
	v_add_co_ci_u32_e32 v5, vcc_lo, 0, v5, vcc_lo
	s_delay_alu instid0(VALU_DEP_2) | instskip(SKIP_1) | instid1(VALU_DEP_2)
	v_add_co_u32 v4, vcc_lo, v4, v11
	s_wait_alu 0xfffd
	v_add_co_ci_u32_e32 v4, vcc_lo, v5, v12, vcc_lo
	s_wait_alu 0xfffd
	v_add_co_ci_u32_e32 v5, vcc_lo, 0, v14, vcc_lo
	s_delay_alu instid0(VALU_DEP_2) | instskip(SKIP_1) | instid1(VALU_DEP_2)
	v_add_co_u32 v11, vcc_lo, v4, v13
	s_wait_alu 0xfffd
	v_add_co_ci_u32_e32 v6, vcc_lo, 0, v5, vcc_lo
	s_delay_alu instid0(VALU_DEP_2) | instskip(SKIP_1) | instid1(VALU_DEP_3)
	v_mul_lo_u32 v12, s25, v11
	v_mad_co_u64_u32 v[4:5], null, s24, v11, 0
	v_mul_lo_u32 v13, s24, v6
	s_delay_alu instid0(VALU_DEP_2) | instskip(NEXT) | instid1(VALU_DEP_2)
	v_sub_co_u32 v4, vcc_lo, v9, v4
	v_add3_u32 v5, v5, v13, v12
	s_delay_alu instid0(VALU_DEP_1) | instskip(SKIP_1) | instid1(VALU_DEP_1)
	v_sub_nc_u32_e32 v12, v10, v5
	s_wait_alu 0xfffd
	v_subrev_co_ci_u32_e64 v12, s2, s25, v12, vcc_lo
	v_add_co_u32 v13, s2, v11, 2
	s_wait_alu 0xf1ff
	v_add_co_ci_u32_e64 v14, s2, 0, v6, s2
	v_sub_co_u32 v15, s2, v4, s24
	v_sub_co_ci_u32_e32 v5, vcc_lo, v10, v5, vcc_lo
	s_wait_alu 0xf1ff
	v_subrev_co_ci_u32_e64 v12, s2, 0, v12, s2
	s_delay_alu instid0(VALU_DEP_3) | instskip(NEXT) | instid1(VALU_DEP_3)
	v_cmp_le_u32_e32 vcc_lo, s24, v15
	v_cmp_eq_u32_e64 s2, s25, v5
	s_wait_alu 0xfffd
	v_cndmask_b32_e64 v15, 0, -1, vcc_lo
	v_cmp_le_u32_e32 vcc_lo, s25, v12
	s_wait_alu 0xfffd
	v_cndmask_b32_e64 v16, 0, -1, vcc_lo
	v_cmp_le_u32_e32 vcc_lo, s24, v4
	;; [unrolled: 3-line block ×3, first 2 shown]
	s_wait_alu 0xfffd
	v_cndmask_b32_e64 v17, 0, -1, vcc_lo
	v_cmp_eq_u32_e32 vcc_lo, s25, v12
	s_wait_alu 0xf1ff
	s_delay_alu instid0(VALU_DEP_2)
	v_cndmask_b32_e64 v4, v17, v4, s2
	s_wait_alu 0xfffd
	v_cndmask_b32_e32 v12, v16, v15, vcc_lo
	v_add_co_u32 v15, vcc_lo, v11, 1
	s_wait_alu 0xfffd
	v_add_co_ci_u32_e32 v16, vcc_lo, 0, v6, vcc_lo
	s_delay_alu instid0(VALU_DEP_3) | instskip(SKIP_1) | instid1(VALU_DEP_2)
	v_cmp_ne_u32_e32 vcc_lo, 0, v12
	s_wait_alu 0xfffd
	v_dual_cndmask_b32 v5, v16, v14 :: v_dual_cndmask_b32 v12, v15, v13
	v_cmp_ne_u32_e32 vcc_lo, 0, v4
	s_wait_alu 0xfffd
	s_delay_alu instid0(VALU_DEP_2)
	v_dual_cndmask_b32 v6, v6, v5 :: v_dual_cndmask_b32 v5, v11, v12
.LBB0_4:                                ;   in Loop: Header=BB0_2 Depth=1
	s_wait_alu 0xfffe
	s_and_not1_saveexec_b32 s2, s26
	s_cbranch_execz .LBB0_6
; %bb.5:                                ;   in Loop: Header=BB0_2 Depth=1
	v_cvt_f32_u32_e32 v4, s24
	s_sub_co_i32 s26, 0, s24
	s_delay_alu instid0(VALU_DEP_1) | instskip(NEXT) | instid1(TRANS32_DEP_1)
	v_rcp_iflag_f32_e32 v4, v4
	v_mul_f32_e32 v4, 0x4f7ffffe, v4
	s_delay_alu instid0(VALU_DEP_1) | instskip(SKIP_1) | instid1(VALU_DEP_1)
	v_cvt_u32_f32_e32 v4, v4
	s_wait_alu 0xfffe
	v_mul_lo_u32 v5, s26, v4
	s_delay_alu instid0(VALU_DEP_1) | instskip(NEXT) | instid1(VALU_DEP_1)
	v_mul_hi_u32 v5, v4, v5
	v_add_nc_u32_e32 v4, v4, v5
	s_delay_alu instid0(VALU_DEP_1) | instskip(NEXT) | instid1(VALU_DEP_1)
	v_mul_hi_u32 v4, v9, v4
	v_mul_lo_u32 v5, v4, s24
	v_add_nc_u32_e32 v6, 1, v4
	s_delay_alu instid0(VALU_DEP_2) | instskip(NEXT) | instid1(VALU_DEP_1)
	v_sub_nc_u32_e32 v5, v9, v5
	v_subrev_nc_u32_e32 v11, s24, v5
	v_cmp_le_u32_e32 vcc_lo, s24, v5
	s_wait_alu 0xfffd
	s_delay_alu instid0(VALU_DEP_2) | instskip(NEXT) | instid1(VALU_DEP_1)
	v_dual_cndmask_b32 v5, v5, v11 :: v_dual_cndmask_b32 v4, v4, v6
	v_cmp_le_u32_e32 vcc_lo, s24, v5
	s_delay_alu instid0(VALU_DEP_2) | instskip(SKIP_1) | instid1(VALU_DEP_1)
	v_add_nc_u32_e32 v6, 1, v4
	s_wait_alu 0xfffd
	v_dual_cndmask_b32 v5, v4, v6 :: v_dual_mov_b32 v6, v3
.LBB0_6:                                ;   in Loop: Header=BB0_2 Depth=1
	s_wait_alu 0xfffe
	s_or_b32 exec_lo, exec_lo, s2
	s_delay_alu instid0(VALU_DEP_1) | instskip(NEXT) | instid1(VALU_DEP_2)
	v_mul_lo_u32 v4, v6, s24
	v_mul_lo_u32 v13, v5, s25
	s_load_b64 s[26:27], s[18:19], 0x0
	v_mad_co_u64_u32 v[11:12], null, v5, s24, 0
	s_load_b64 s[24:25], s[16:17], 0x0
	s_add_nc_u64 s[20:21], s[20:21], 1
	s_add_nc_u64 s[16:17], s[16:17], 8
	s_wait_alu 0xfffe
	v_cmp_ge_u64_e64 s2, s[20:21], s[10:11]
	s_add_nc_u64 s[18:19], s[18:19], 8
	s_add_nc_u64 s[22:23], s[22:23], 8
	v_add3_u32 v4, v12, v13, v4
	v_sub_co_u32 v9, vcc_lo, v9, v11
	s_wait_alu 0xfffd
	s_delay_alu instid0(VALU_DEP_2) | instskip(SKIP_2) | instid1(VALU_DEP_1)
	v_sub_co_ci_u32_e32 v4, vcc_lo, v10, v4, vcc_lo
	s_and_b32 vcc_lo, exec_lo, s2
	s_wait_kmcnt 0x0
	v_mul_lo_u32 v10, s26, v4
	v_mul_lo_u32 v11, s27, v9
	v_mad_co_u64_u32 v[7:8], null, s26, v9, v[7:8]
	v_mul_lo_u32 v4, s24, v4
	v_mul_lo_u32 v12, s25, v9
	v_mad_co_u64_u32 v[1:2], null, s24, v9, v[1:2]
	s_delay_alu instid0(VALU_DEP_4) | instskip(NEXT) | instid1(VALU_DEP_2)
	v_add3_u32 v8, v11, v8, v10
	v_add3_u32 v2, v12, v2, v4
	s_wait_alu 0xfffe
	s_cbranch_vccnz .LBB0_9
; %bb.7:                                ;   in Loop: Header=BB0_2 Depth=1
	v_dual_mov_b32 v10, v6 :: v_dual_mov_b32 v9, v5
	s_branch .LBB0_2
.LBB0_8:
	v_dual_mov_b32 v1, v7 :: v_dual_mov_b32 v2, v8
	v_dual_mov_b32 v5, v9 :: v_dual_mov_b32 v6, v10
.LBB0_9:
	s_load_b64 s[0:1], s[0:1], 0x28
	v_mul_hi_u32 v4, 0x2492493, v0
	s_lshl_b64 s[10:11], s[10:11], 3
                                        ; implicit-def: $vgpr3
	s_wait_alu 0xfffe
	s_add_nc_u64 s[2:3], s[14:15], s[10:11]
	s_wait_kmcnt 0x0
	v_cmp_gt_u64_e32 vcc_lo, s[0:1], v[5:6]
	v_cmp_le_u64_e64 s0, s[0:1], v[5:6]
	s_delay_alu instid0(VALU_DEP_1)
	s_and_saveexec_b32 s1, s0
	s_wait_alu 0xfffe
	s_xor_b32 s0, exec_lo, s1
; %bb.10:
	v_mul_u32_u24_e32 v3, 0x70, v4
                                        ; implicit-def: $vgpr4
                                        ; implicit-def: $vgpr7_vgpr8
	s_delay_alu instid0(VALU_DEP_1)
	v_sub_nc_u32_e32 v3, v0, v3
                                        ; implicit-def: $vgpr0
; %bb.11:
	s_wait_alu 0xfffe
	s_or_saveexec_b32 s1, s0
	s_load_b64 s[2:3], s[2:3], 0x0
	s_xor_b32 exec_lo, exec_lo, s1
	s_cbranch_execz .LBB0_15
; %bb.12:
	s_add_nc_u64 s[10:11], s[12:13], s[10:11]
	v_lshlrev_b64_e32 v[7:8], 2, v[7:8]
	s_load_b64 s[10:11], s[10:11], 0x0
	s_wait_kmcnt 0x0
	v_mul_lo_u32 v3, s11, v5
	v_mul_lo_u32 v11, s10, v6
	v_mad_co_u64_u32 v[9:10], null, s10, v5, 0
	s_delay_alu instid0(VALU_DEP_1) | instskip(SKIP_1) | instid1(VALU_DEP_2)
	v_add3_u32 v10, v10, v11, v3
	v_mul_u32_u24_e32 v3, 0x70, v4
	v_lshlrev_b64_e32 v[9:10], 2, v[9:10]
	s_delay_alu instid0(VALU_DEP_2) | instskip(NEXT) | instid1(VALU_DEP_1)
	v_sub_nc_u32_e32 v3, v0, v3
	v_lshlrev_b32_e32 v11, 2, v3
	s_delay_alu instid0(VALU_DEP_3) | instskip(SKIP_1) | instid1(VALU_DEP_4)
	v_add_co_u32 v0, s0, s4, v9
	s_wait_alu 0xf1ff
	v_add_co_ci_u32_e64 v4, s0, s5, v10, s0
	s_mov_b32 s4, exec_lo
	s_delay_alu instid0(VALU_DEP_2) | instskip(SKIP_1) | instid1(VALU_DEP_2)
	v_add_co_u32 v7, s0, v0, v7
	s_wait_alu 0xf1ff
	v_add_co_ci_u32_e64 v8, s0, v4, v8, s0
	s_delay_alu instid0(VALU_DEP_2) | instskip(SKIP_1) | instid1(VALU_DEP_2)
	v_add_co_u32 v9, s0, v7, v11
	s_wait_alu 0xf1ff
	v_add_co_ci_u32_e64 v10, s0, 0, v8, s0
	s_clause 0xe
	global_load_b32 v0, v[9:10], off
	global_load_b32 v4, v[9:10], off offset:448
	global_load_b32 v12, v[9:10], off offset:896
	;; [unrolled: 1-line block ×14, first 2 shown]
	v_add_nc_u32_e32 v10, 0, v11
	s_delay_alu instid0(VALU_DEP_1)
	v_add_nc_u32_e32 v11, 0x200, v10
	v_add_nc_u32_e32 v24, 0x600, v10
	;; [unrolled: 1-line block ×6, first 2 shown]
	s_wait_loadcnt 0xd
	ds_store_2addr_b32 v10, v0, v4 offset1:112
	s_wait_loadcnt 0xb
	ds_store_2addr_b32 v11, v12, v13 offset0:96 offset1:208
	s_wait_loadcnt 0x9
	ds_store_2addr_b32 v24, v14, v15 offset0:64 offset1:176
	;; [unrolled: 2-line block ×6, first 2 shown]
	s_wait_loadcnt 0x0
	ds_store_b32 v10, v9 offset:6272
	v_cmpx_eq_u32_e32 0x6f, v3
	s_cbranch_execz .LBB0_14
; %bb.13:
	global_load_b32 v0, v[7:8], off offset:6720
	v_dual_mov_b32 v4, 0 :: v_dual_mov_b32 v3, 0x6f
	s_wait_loadcnt 0x0
	ds_store_b32 v4, v0 offset:6720
.LBB0_14:
	s_wait_alu 0xfffe
	s_or_b32 exec_lo, exec_lo, s4
.LBB0_15:
	s_delay_alu instid0(SALU_CYCLE_1)
	s_or_b32 exec_lo, exec_lo, s1
	v_lshlrev_b32_e32 v7, 2, v3
	global_wb scope:SCOPE_SE
	s_wait_dscnt 0x0
	s_wait_kmcnt 0x0
	s_barrier_signal -1
	s_barrier_wait -1
	global_inv scope:SCOPE_SE
	v_add_nc_u32_e32 v0, 0, v7
	v_sub_nc_u32_e32 v10, 0, v7
	s_mov_b32 s1, exec_lo
                                        ; implicit-def: $vgpr8_vgpr9
	ds_load_u16 v13, v0
	ds_load_u16 v14, v10 offset:6720
	s_wait_dscnt 0x0
	v_add_f16_e32 v12, v14, v13
	v_sub_f16_e32 v11, v13, v14
	v_cmpx_ne_u32_e32 0, v3
	s_wait_alu 0xfffe
	s_xor_b32 s1, exec_lo, s1
	s_cbranch_execz .LBB0_17
; %bb.16:
	v_mov_b32_e32 v4, 0
	v_add_f16_e32 v12, v14, v13
	v_sub_f16_e32 v13, v13, v14
	s_delay_alu instid0(VALU_DEP_3) | instskip(NEXT) | instid1(VALU_DEP_1)
	v_lshlrev_b64_e32 v[8:9], 2, v[3:4]
	v_add_co_u32 v8, s0, s8, v8
	s_wait_alu 0xf1ff
	s_delay_alu instid0(VALU_DEP_2)
	v_add_co_ci_u32_e64 v9, s0, s9, v9, s0
	global_load_b32 v8, v[8:9], off offset:6712
	ds_load_u16 v9, v10 offset:6722
	ds_load_u16 v11, v0 offset:2
	s_wait_dscnt 0x0
	v_add_f16_e32 v14, v9, v11
	v_sub_f16_e32 v9, v11, v9
	s_wait_loadcnt 0x0
	v_lshrrev_b32_e32 v15, 16, v8
	s_delay_alu instid0(VALU_DEP_1) | instskip(NEXT) | instid1(VALU_DEP_3)
	v_fma_f16 v16, -v13, v15, v12
	v_fma_f16 v17, v14, v15, -v9
	v_fma_f16 v11, v14, v15, v9
	v_fma_f16 v12, v13, v15, v12
	s_delay_alu instid0(VALU_DEP_4) | instskip(NEXT) | instid1(VALU_DEP_4)
	v_fmac_f16_e32 v16, v8, v14
	v_fmac_f16_e32 v17, v13, v8
	s_delay_alu instid0(VALU_DEP_4) | instskip(NEXT) | instid1(VALU_DEP_4)
	v_fmac_f16_e32 v11, v13, v8
	v_fma_f16 v12, -v8, v14, v12
	v_dual_mov_b32 v9, v4 :: v_dual_mov_b32 v8, v3
	s_delay_alu instid0(VALU_DEP_4)
	v_pack_b32_f16 v13, v16, v17
	ds_store_b32 v10, v13 offset:6720
.LBB0_17:
	s_wait_alu 0xfffe
	s_and_not1_saveexec_b32 s0, s1
	s_cbranch_execz .LBB0_19
; %bb.18:
	v_mov_b32_e32 v4, 0
	ds_load_b32 v8, v4 offset:3360
	s_wait_dscnt 0x0
	v_pk_mul_f16 v13, 0xc0004000, v8
	v_mov_b32_e32 v8, 0
	v_mov_b32_e32 v9, 0
	ds_store_b32 v4, v13 offset:3360
.LBB0_19:
	s_wait_alu 0xfffe
	s_or_b32 exec_lo, exec_lo, s0
	v_lshlrev_b64_e32 v[8:9], 2, v[8:9]
	s_add_nc_u64 s[0:1], s[8:9], 0x1a38
	v_perm_b32 v11, v11, v12, 0x5040100
	s_wait_alu 0xfffe
	s_delay_alu instid0(VALU_DEP_2)
	v_add_co_u32 v8, s0, s0, v8
	s_wait_alu 0xf1ff
	v_add_co_ci_u32_e64 v9, s0, s1, v9, s0
	v_cmp_gt_u32_e64 s0, 56, v3
	s_clause 0x5
	global_load_b32 v4, v[8:9], off offset:448
	global_load_b32 v13, v[8:9], off offset:896
	;; [unrolled: 1-line block ×6, first 2 shown]
	ds_store_b32 v0, v11
	ds_load_b32 v11, v0 offset:448
	ds_load_b32 v12, v10 offset:6272
	s_wait_dscnt 0x1
	v_lshrrev_b32_e32 v18, 16, v11
	s_wait_dscnt 0x0
	v_lshrrev_b32_e32 v19, 16, v12
	v_add_f16_e32 v20, v11, v12
	v_sub_f16_e32 v11, v11, v12
	s_delay_alu instid0(VALU_DEP_3) | instskip(SKIP_3) | instid1(VALU_DEP_1)
	v_add_f16_e32 v12, v19, v18
	v_sub_f16_e32 v18, v18, v19
	s_wait_loadcnt 0x5
	v_lshrrev_b32_e32 v21, 16, v4
	v_fma_f16 v19, v11, v21, v20
	s_delay_alu instid0(VALU_DEP_3) | instskip(SKIP_2) | instid1(VALU_DEP_4)
	v_fma_f16 v22, v12, v21, v18
	v_fma_f16 v20, -v11, v21, v20
	v_fma_f16 v18, v12, v21, -v18
	v_fma_f16 v19, -v4, v12, v19
	s_delay_alu instid0(VALU_DEP_4) | instskip(NEXT) | instid1(VALU_DEP_4)
	v_fmac_f16_e32 v22, v11, v4
	v_fmac_f16_e32 v20, v4, v12
	s_delay_alu instid0(VALU_DEP_4) | instskip(NEXT) | instid1(VALU_DEP_3)
	v_fmac_f16_e32 v18, v11, v4
	v_pack_b32_f16 v4, v19, v22
	s_wait_loadcnt 0x4
	v_lshrrev_b32_e32 v19, 16, v13
	s_delay_alu instid0(VALU_DEP_3)
	v_pack_b32_f16 v11, v20, v18
	ds_store_b32 v0, v4 offset:448
	ds_store_b32 v10, v11 offset:6272
	ds_load_b32 v4, v0 offset:896
	ds_load_b32 v11, v10 offset:5824
	s_wait_dscnt 0x1
	v_lshrrev_b32_e32 v12, 16, v4
	s_wait_dscnt 0x0
	v_lshrrev_b32_e32 v18, 16, v11
	v_add_f16_e32 v20, v4, v11
	v_sub_f16_e32 v4, v4, v11
	s_delay_alu instid0(VALU_DEP_3) | instskip(SKIP_1) | instid1(VALU_DEP_3)
	v_add_f16_e32 v11, v18, v12
	v_sub_f16_e32 v12, v12, v18
	v_fma_f16 v18, v4, v19, v20
	v_fma_f16 v20, -v4, v19, v20
	s_delay_alu instid0(VALU_DEP_3) | instskip(SKIP_1) | instid1(VALU_DEP_4)
	v_fma_f16 v21, v11, v19, v12
	v_fma_f16 v12, v11, v19, -v12
	v_fma_f16 v18, -v13, v11, v18
	s_delay_alu instid0(VALU_DEP_4) | instskip(NEXT) | instid1(VALU_DEP_4)
	v_fmac_f16_e32 v20, v13, v11
	v_fmac_f16_e32 v21, v4, v13
	s_delay_alu instid0(VALU_DEP_4) | instskip(NEXT) | instid1(VALU_DEP_2)
	v_fmac_f16_e32 v12, v4, v13
	v_pack_b32_f16 v4, v18, v21
	s_delay_alu instid0(VALU_DEP_2)
	v_pack_b32_f16 v11, v20, v12
	ds_store_b32 v0, v4 offset:896
	ds_store_b32 v10, v11 offset:5824
	ds_load_b32 v4, v0 offset:1344
	ds_load_b32 v11, v10 offset:5376
	s_wait_loadcnt 0x3
	v_lshrrev_b32_e32 v18, 16, v14
	s_wait_dscnt 0x1
	v_lshrrev_b32_e32 v12, 16, v4
	s_wait_dscnt 0x0
	v_lshrrev_b32_e32 v13, 16, v11
	v_add_f16_e32 v19, v4, v11
	v_sub_f16_e32 v4, v4, v11
	s_delay_alu instid0(VALU_DEP_3) | instskip(SKIP_1) | instid1(VALU_DEP_3)
	v_add_f16_e32 v11, v13, v12
	v_sub_f16_e32 v12, v12, v13
	v_fma_f16 v13, v4, v18, v19
	v_fma_f16 v19, -v4, v18, v19
	s_delay_alu instid0(VALU_DEP_3) | instskip(SKIP_1) | instid1(VALU_DEP_4)
	v_fma_f16 v20, v11, v18, v12
	v_fma_f16 v12, v11, v18, -v12
	v_fma_f16 v13, -v14, v11, v13
	s_delay_alu instid0(VALU_DEP_4) | instskip(NEXT) | instid1(VALU_DEP_4)
	v_fmac_f16_e32 v19, v14, v11
	v_fmac_f16_e32 v20, v4, v14
	s_delay_alu instid0(VALU_DEP_4) | instskip(SKIP_2) | instid1(VALU_DEP_3)
	v_fmac_f16_e32 v12, v4, v14
	s_wait_loadcnt 0x2
	v_lshrrev_b32_e32 v14, 16, v15
	v_pack_b32_f16 v4, v13, v20
	s_delay_alu instid0(VALU_DEP_3)
	v_pack_b32_f16 v11, v19, v12
	ds_store_b32 v0, v4 offset:1344
	ds_store_b32 v10, v11 offset:5376
	ds_load_b32 v4, v0 offset:1792
	ds_load_b32 v11, v10 offset:4928
	s_wait_dscnt 0x1
	v_lshrrev_b32_e32 v12, 16, v4
	s_wait_dscnt 0x0
	v_lshrrev_b32_e32 v13, 16, v11
	v_add_f16_e32 v18, v4, v11
	v_sub_f16_e32 v4, v4, v11
	s_delay_alu instid0(VALU_DEP_3) | instskip(SKIP_1) | instid1(VALU_DEP_3)
	v_add_f16_e32 v11, v13, v12
	v_sub_f16_e32 v12, v12, v13
	v_fma_f16 v13, v4, v14, v18
	v_fma_f16 v18, -v4, v14, v18
	s_delay_alu instid0(VALU_DEP_3) | instskip(SKIP_1) | instid1(VALU_DEP_4)
	v_fma_f16 v19, v11, v14, v12
	v_fma_f16 v12, v11, v14, -v12
	v_fma_f16 v13, -v15, v11, v13
	s_delay_alu instid0(VALU_DEP_4) | instskip(SKIP_4) | instid1(VALU_DEP_2)
	v_fmac_f16_e32 v18, v15, v11
	s_wait_loadcnt 0x1
	v_lshrrev_b32_e32 v14, 16, v16
	v_fmac_f16_e32 v19, v4, v15
	v_fmac_f16_e32 v12, v4, v15
	v_pack_b32_f16 v4, v13, v19
	s_delay_alu instid0(VALU_DEP_2)
	v_pack_b32_f16 v11, v18, v12
	ds_store_b32 v0, v4 offset:1792
	ds_store_b32 v10, v11 offset:4928
	ds_load_b32 v4, v0 offset:2240
	ds_load_b32 v11, v10 offset:4480
	s_wait_dscnt 0x1
	v_lshrrev_b32_e32 v12, 16, v4
	s_wait_dscnt 0x0
	v_lshrrev_b32_e32 v13, 16, v11
	v_add_f16_e32 v15, v4, v11
	v_sub_f16_e32 v4, v4, v11
	s_delay_alu instid0(VALU_DEP_3) | instskip(SKIP_1) | instid1(VALU_DEP_3)
	v_add_f16_e32 v11, v13, v12
	v_sub_f16_e32 v12, v12, v13
	v_fma_f16 v13, v4, v14, v15
	v_fma_f16 v15, -v4, v14, v15
	s_delay_alu instid0(VALU_DEP_3) | instskip(SKIP_1) | instid1(VALU_DEP_4)
	v_fma_f16 v18, v11, v14, v12
	v_fma_f16 v12, v11, v14, -v12
	v_fma_f16 v13, -v16, v11, v13
	s_delay_alu instid0(VALU_DEP_4) | instskip(SKIP_4) | instid1(VALU_DEP_2)
	v_fmac_f16_e32 v15, v16, v11
	s_wait_loadcnt 0x0
	v_lshrrev_b32_e32 v14, 16, v17
	v_fmac_f16_e32 v18, v4, v16
	v_fmac_f16_e32 v12, v4, v16
	v_pack_b32_f16 v4, v13, v18
	s_delay_alu instid0(VALU_DEP_2)
	v_pack_b32_f16 v11, v15, v12
	ds_store_b32 v0, v4 offset:2240
	ds_store_b32 v10, v11 offset:4480
	ds_load_b32 v4, v0 offset:2688
	ds_load_b32 v11, v10 offset:4032
	s_wait_dscnt 0x1
	v_lshrrev_b32_e32 v12, 16, v4
	s_wait_dscnt 0x0
	v_lshrrev_b32_e32 v13, 16, v11
	v_add_f16_e32 v15, v4, v11
	v_sub_f16_e32 v4, v4, v11
	s_delay_alu instid0(VALU_DEP_3) | instskip(SKIP_1) | instid1(VALU_DEP_3)
	v_add_f16_e32 v11, v13, v12
	v_sub_f16_e32 v12, v12, v13
	v_fma_f16 v13, v4, v14, v15
	v_fma_f16 v15, -v4, v14, v15
	s_delay_alu instid0(VALU_DEP_3) | instskip(SKIP_1) | instid1(VALU_DEP_4)
	v_fma_f16 v16, v11, v14, v12
	v_fma_f16 v12, v11, v14, -v12
	v_fma_f16 v13, -v17, v11, v13
	s_delay_alu instid0(VALU_DEP_4) | instskip(NEXT) | instid1(VALU_DEP_4)
	v_fmac_f16_e32 v15, v17, v11
	v_fmac_f16_e32 v16, v4, v17
	s_delay_alu instid0(VALU_DEP_4) | instskip(NEXT) | instid1(VALU_DEP_2)
	v_fmac_f16_e32 v12, v4, v17
	v_pack_b32_f16 v4, v13, v16
	s_delay_alu instid0(VALU_DEP_2)
	v_pack_b32_f16 v11, v15, v12
	ds_store_b32 v0, v4 offset:2688
	ds_store_b32 v10, v11 offset:4032
	s_and_saveexec_b32 s1, s0
	s_cbranch_execz .LBB0_21
; %bb.20:
	global_load_b32 v4, v[8:9], off offset:3136
	ds_load_b32 v8, v0 offset:3136
	ds_load_b32 v9, v10 offset:3584
	s_wait_dscnt 0x1
	v_lshrrev_b32_e32 v11, 16, v8
	s_wait_dscnt 0x0
	v_lshrrev_b32_e32 v12, 16, v9
	v_add_f16_e32 v13, v8, v9
	v_sub_f16_e32 v8, v8, v9
	s_delay_alu instid0(VALU_DEP_3) | instskip(SKIP_3) | instid1(VALU_DEP_1)
	v_add_f16_e32 v9, v12, v11
	v_sub_f16_e32 v11, v11, v12
	s_wait_loadcnt 0x0
	v_lshrrev_b32_e32 v14, 16, v4
	v_fma_f16 v12, v8, v14, v13
	s_delay_alu instid0(VALU_DEP_3) | instskip(SKIP_2) | instid1(VALU_DEP_4)
	v_fma_f16 v15, v9, v14, v11
	v_fma_f16 v13, -v8, v14, v13
	v_fma_f16 v11, v9, v14, -v11
	v_fma_f16 v12, -v4, v9, v12
	s_delay_alu instid0(VALU_DEP_4) | instskip(NEXT) | instid1(VALU_DEP_4)
	v_fmac_f16_e32 v15, v8, v4
	v_fmac_f16_e32 v13, v4, v9
	s_delay_alu instid0(VALU_DEP_4) | instskip(NEXT) | instid1(VALU_DEP_3)
	v_fmac_f16_e32 v11, v8, v4
	v_pack_b32_f16 v4, v12, v15
	s_delay_alu instid0(VALU_DEP_2)
	v_pack_b32_f16 v8, v13, v11
	ds_store_b32 v0, v4 offset:3136
	ds_store_b32 v10, v8 offset:3584
.LBB0_21:
	s_wait_alu 0xfffe
	s_or_b32 exec_lo, exec_lo, s1
	v_add_nc_u32_e32 v10, 0xa00, v0
	v_add_nc_u32_e32 v4, 0x1600, v0
	;; [unrolled: 1-line block ×3, first 2 shown]
	global_wb scope:SCOPE_SE
	s_wait_dscnt 0x0
	s_barrier_signal -1
	s_barrier_wait -1
	global_inv scope:SCOPE_SE
	global_wb scope:SCOPE_SE
	s_barrier_signal -1
	s_barrier_wait -1
	global_inv scope:SCOPE_SE
	ds_load_2addr_b32 v[8:9], v10 offset0:32 offset1:144
	ds_load_2addr_b32 v[13:14], v4 offset0:104 offset1:216
	ds_load_2addr_b32 v[15:16], v0 offset1:112
	ds_load_2addr_b32 v[19:20], v11 offset0:72 offset1:184
	v_add_nc_u32_e32 v11, 0x200, v0
	v_add_nc_u32_e32 v4, 0x1000, v0
	;; [unrolled: 1-line block ×4, first 2 shown]
	ds_load_2addr_b32 v[25:26], v11 offset0:96 offset1:208
	ds_load_2addr_b32 v[35:36], v4 offset0:40 offset1:152
	;; [unrolled: 1-line block ×4, first 2 shown]
	v_add_nc_u32_e32 v28, 0x70, v3
	v_add_nc_u32_e32 v4, 0xe0, v3
	;; [unrolled: 1-line block ×8, first 2 shown]
	v_lshl_add_u32 v21, v4, 3, 0
	s_wait_dscnt 0x6
	v_pk_add_f16 v34, v9, v14 neg_lo:[0,1] neg_hi:[0,1]
	v_pk_add_f16 v13, v8, v13 neg_lo:[0,1] neg_hi:[0,1]
	s_wait_dscnt 0x4
	v_pk_add_f16 v14, v15, v19 neg_lo:[0,1] neg_hi:[0,1]
	v_lshl_add_u32 v19, v28, 3, 0
	v_lshl_add_u32 v27, v23, 3, 0
	v_pk_fma_f16 v33, v9, 2.0, v34 op_sel_hi:[1,0,1] neg_lo:[0,0,1] neg_hi:[0,0,1]
	v_pk_add_f16 v9, v16, v20 neg_lo:[0,1] neg_hi:[0,1]
	v_pk_fma_f16 v15, v15, 2.0, v14 op_sel_hi:[1,0,1] neg_lo:[0,0,1] neg_hi:[0,0,1]
	s_wait_dscnt 0x2
	v_pk_add_f16 v17, v25, v35 neg_lo:[0,1] neg_hi:[0,1]
	v_pk_add_f16 v20, v26, v36 neg_lo:[0,1] neg_hi:[0,1]
	s_wait_dscnt 0x0
	v_pk_add_f16 v29, v37, v39 neg_lo:[0,1] neg_hi:[0,1]
	v_pk_add_f16 v35, v38, v40 neg_lo:[0,1] neg_hi:[0,1]
	v_pk_fma_f16 v16, v16, 2.0, v9 op_sel_hi:[1,0,1] neg_lo:[0,0,1] neg_hi:[0,0,1]
	v_pk_fma_f16 v25, v25, 2.0, v17 op_sel_hi:[1,0,1] neg_lo:[0,0,1] neg_hi:[0,0,1]
	;; [unrolled: 1-line block ×3, first 2 shown]
	v_lshl_add_u32 v36, v22, 3, 0
	v_pk_fma_f16 v37, v37, 2.0, v29 op_sel_hi:[1,0,1] neg_lo:[0,0,1] neg_hi:[0,0,1]
	v_lshl_add_u32 v39, v30, 3, 0
	v_pk_fma_f16 v38, v38, 2.0, v35 op_sel_hi:[1,0,1] neg_lo:[0,0,1] neg_hi:[0,0,1]
	;; [unrolled: 2-line block ×3, first 2 shown]
	global_wb scope:SCOPE_SE
	s_barrier_signal -1
	s_barrier_wait -1
	global_inv scope:SCOPE_SE
	ds_store_2addr_b32 v32, v15, v14 offset1:1
	ds_store_2addr_b32 v19, v16, v9 offset1:1
	;; [unrolled: 1-line block ×7, first 2 shown]
	s_and_saveexec_b32 s1, s0
	s_cbranch_execz .LBB0_23
; %bb.22:
	v_lshl_add_u32 v8, v24, 3, 0
	ds_store_2addr_b32 v8, v33, v34 offset1:1
.LBB0_23:
	s_wait_alu 0xfffe
	s_or_b32 exec_lo, exec_lo, s1
	v_add_nc_u32_e32 v13, 0xe00, v0
	v_add_nc_u32_e32 v16, 0x1200, v0
	global_wb scope:SCOPE_SE
	s_wait_dscnt 0x0
	s_barrier_signal -1
	s_barrier_wait -1
	global_inv scope:SCOPE_SE
	ds_load_2addr_b32 v[8:9], v0 offset1:112
	ds_load_2addr_b32 v[14:15], v10 offset0:32 offset1:200
	ds_load_2addr_b32 v[20:21], v13 offset0:56 offset1:168
	;; [unrolled: 1-line block ×6, first 2 shown]
	v_lshlrev_b32_e32 v25, 1, v28
	v_lshlrev_b32_e32 v26, 1, v4
	;; [unrolled: 1-line block ×6, first 2 shown]
	v_lshrrev_b32_e32 v35, 16, v34
	s_and_saveexec_b32 s1, s0
	s_cbranch_execz .LBB0_25
; %bb.24:
	v_sub_nc_u32_e32 v32, v32, v7
	ds_load_b32 v34, v0 offset:6496
	ds_load_b32 v33, v32 offset:3136
	s_wait_dscnt 0x1
	v_lshrrev_b32_e32 v35, 16, v34
.LBB0_25:
	s_wait_alu 0xfffe
	s_or_b32 exec_lo, exec_lo, s1
	v_and_b32_e32 v37, 1, v3
	s_wait_dscnt 0x0
	v_lshrrev_b32_e32 v38, 16, v33
	v_lshlrev_b32_e32 v24, 1, v24
	s_delay_alu instid0(VALU_DEP_3)
	v_lshlrev_b32_e32 v32, 2, v37
	v_and_or_b32 v40, 0x1fc, v25, v37
	v_and_or_b32 v41, 0x3fc, v26, v37
	;; [unrolled: 1-line block ×4, first 2 shown]
	global_load_b32 v36, v32, s[8:9]
	v_lshlrev_b32_e32 v32, 1, v3
	v_and_or_b32 v44, 0x5fc, v30, v37
	v_and_or_b32 v45, 0x7fc, v31, v37
	v_lshl_add_u32 v40, v40, 2, 0
	v_lshl_add_u32 v41, v41, 2, 0
	v_and_or_b32 v39, 0xfc, v32, v37
	v_lshl_add_u32 v42, v42, 2, 0
	v_lshl_add_u32 v43, v43, 2, 0
	;; [unrolled: 1-line block ×5, first 2 shown]
	global_wb scope:SCOPE_SE
	s_wait_loadcnt 0x0
	s_barrier_signal -1
	s_barrier_wait -1
	global_inv scope:SCOPE_SE
	v_pk_mul_f16 v46, v36, v19 op_sel:[0,1]
	v_lshrrev_b32_e32 v47, 16, v36
	v_pk_mul_f16 v48, v36, v15 op_sel:[0,1]
	v_pk_mul_f16 v49, v36, v20 op_sel:[0,1]
	;; [unrolled: 1-line block ×6, first 2 shown]
	v_pk_fma_f16 v54, v36, v19, v46 op_sel:[0,0,1] op_sel_hi:[1,1,0]
	v_pk_fma_f16 v19, v36, v19, v46 op_sel:[0,0,1] op_sel_hi:[1,0,0] neg_lo:[1,0,0] neg_hi:[1,0,0]
	v_mul_f16_e32 v46, v35, v47
	v_mul_f16_e32 v47, v34, v47
	v_pk_fma_f16 v55, v36, v15, v48 op_sel:[0,0,1] op_sel_hi:[1,1,0]
	v_pk_fma_f16 v15, v36, v15, v48 op_sel:[0,0,1] op_sel_hi:[1,0,0] neg_lo:[1,0,0] neg_hi:[1,0,0]
	v_pk_fma_f16 v48, v36, v20, v49 op_sel:[0,0,1] op_sel_hi:[1,1,0]
	v_pk_fma_f16 v20, v36, v20, v49 op_sel:[0,0,1] op_sel_hi:[1,0,0] neg_lo:[1,0,0] neg_hi:[1,0,0]
	;; [unrolled: 2-line block ×6, first 2 shown]
	v_fmac_f16_e32 v46, v34, v36
	v_fma_f16 v34, v35, v36, -v47
	v_bfi_b32 v15, 0xffff, v55, v15
	v_bfi_b32 v20, 0xffff, v48, v20
	v_bfi_b32 v21, 0xffff, v49, v21
	v_bfi_b32 v16, 0xffff, v50, v16
	v_bfi_b32 v17, 0xffff, v51, v17
	v_bfi_b32 v19, 0xffff, v54, v19
	v_bfi_b32 v18, 0xffff, v52, v18
	v_sub_f16_e32 v35, v33, v46
	v_sub_f16_e32 v36, v38, v34
	v_pk_add_f16 v15, v8, v15 neg_lo:[0,1] neg_hi:[0,1]
	v_pk_add_f16 v20, v9, v20 neg_lo:[0,1] neg_hi:[0,1]
	;; [unrolled: 1-line block ×7, first 2 shown]
	v_fma_f16 v33, v33, 2.0, -v35
	v_fma_f16 v34, v38, 2.0, -v36
	v_pk_fma_f16 v8, v8, 2.0, v15 op_sel_hi:[1,0,1] neg_lo:[0,0,1] neg_hi:[0,0,1]
	v_pk_fma_f16 v9, v9, 2.0, v20 op_sel_hi:[1,0,1] neg_lo:[0,0,1] neg_hi:[0,0,1]
	v_pk_fma_f16 v10, v10, 2.0, v21 op_sel_hi:[1,0,1] neg_lo:[0,0,1] neg_hi:[0,0,1]
	v_pk_fma_f16 v11, v11, 2.0, v16 op_sel_hi:[1,0,1] neg_lo:[0,0,1] neg_hi:[0,0,1]
	v_pk_fma_f16 v12, v12, 2.0, v17 op_sel_hi:[1,0,1] neg_lo:[0,0,1] neg_hi:[0,0,1]
	v_pk_fma_f16 v14, v14, 2.0, v19 op_sel_hi:[1,0,1] neg_lo:[0,0,1] neg_hi:[0,0,1]
	v_pk_fma_f16 v13, v13, 2.0, v18 op_sel_hi:[1,0,1] neg_lo:[0,0,1] neg_hi:[0,0,1]
	ds_store_2addr_b32 v39, v8, v15 offset1:2
	ds_store_2addr_b32 v40, v9, v20 offset1:2
	;; [unrolled: 1-line block ×7, first 2 shown]
	s_and_saveexec_b32 s1, s0
	s_cbranch_execz .LBB0_27
; %bb.26:
	v_and_or_b32 v8, 0x6fc, v24, v37
	v_perm_b32 v9, v34, v33, 0x5040100
	v_perm_b32 v10, v36, v35, 0x5040100
	s_delay_alu instid0(VALU_DEP_3)
	v_lshl_add_u32 v8, v8, 2, 0
	ds_store_2addr_b32 v8, v9, v10 offset1:2
.LBB0_27:
	s_wait_alu 0xfffe
	s_or_b32 exec_lo, exec_lo, s1
	v_add_nc_u32_e32 v12, 0xe00, v0
	v_add_nc_u32_e32 v10, 0xa00, v0
	v_add_nc_u32_e32 v13, 0x200, v0
	v_add_nc_u32_e32 v14, 0x1200, v0
	v_add_nc_u32_e32 v15, 0x600, v0
	v_add_nc_u32_e32 v18, 0x1400, v0
	global_wb scope:SCOPE_SE
	s_wait_dscnt 0x0
	s_barrier_signal -1
	s_barrier_wait -1
	global_inv scope:SCOPE_SE
	ds_load_2addr_b32 v[8:9], v0 offset1:112
	ds_load_2addr_b32 v[10:11], v10 offset0:32 offset1:200
	ds_load_2addr_b32 v[20:21], v12 offset0:56 offset1:168
	ds_load_2addr_b32 v[12:13], v13 offset0:96 offset1:208
	ds_load_2addr_b32 v[16:17], v14 offset0:24 offset1:136
	ds_load_2addr_b32 v[14:15], v15 offset0:64 offset1:176
	ds_load_2addr_b32 v[18:19], v18 offset0:120 offset1:232
	s_and_saveexec_b32 s1, s0
	s_cbranch_execz .LBB0_29
; %bb.28:
	ds_load_b32 v33, v0 offset:3136
	ds_load_b32 v35, v0 offset:6496
	s_wait_dscnt 0x1
	v_lshrrev_b32_e32 v34, 16, v33
	s_wait_dscnt 0x0
	v_lshrrev_b32_e32 v36, 16, v35
.LBB0_29:
	s_wait_alu 0xfffe
	s_or_b32 exec_lo, exec_lo, s1
	v_and_b32_e32 v37, 3, v3
	s_delay_alu instid0(VALU_DEP_1)
	v_lshlrev_b32_e32 v38, 2, v37
	v_and_or_b32 v39, 0xf8, v32, v37
	v_and_or_b32 v40, 0x1f8, v25, v37
	;; [unrolled: 1-line block ×4, first 2 shown]
	global_load_b32 v38, v38, s[8:9] offset:8
	v_and_or_b32 v43, 0x7f8, v29, v37
	v_and_or_b32 v44, 0x5f8, v30, v37
	;; [unrolled: 1-line block ×3, first 2 shown]
	v_lshl_add_u32 v39, v39, 2, 0
	v_lshl_add_u32 v40, v40, 2, 0
	;; [unrolled: 1-line block ×7, first 2 shown]
	global_wb scope:SCOPE_SE
	s_wait_loadcnt_dscnt 0x0
	s_barrier_signal -1
	s_barrier_wait -1
	global_inv scope:SCOPE_SE
	v_pk_mul_f16 v46, v38, v19 op_sel:[0,1]
	v_lshrrev_b32_e32 v47, 16, v38
	v_pk_mul_f16 v48, v38, v11 op_sel:[0,1]
	v_pk_mul_f16 v49, v38, v20 op_sel:[0,1]
	;; [unrolled: 1-line block ×6, first 2 shown]
	v_pk_fma_f16 v54, v38, v19, v46 op_sel:[0,0,1] op_sel_hi:[1,1,0]
	v_pk_fma_f16 v19, v38, v19, v46 op_sel:[0,0,1] op_sel_hi:[1,0,0] neg_lo:[1,0,0] neg_hi:[1,0,0]
	v_mul_f16_e32 v46, v36, v47
	v_mul_f16_e32 v47, v35, v47
	v_pk_fma_f16 v55, v38, v11, v48 op_sel:[0,0,1] op_sel_hi:[1,1,0]
	v_pk_fma_f16 v11, v38, v11, v48 op_sel:[0,0,1] op_sel_hi:[1,0,0] neg_lo:[1,0,0] neg_hi:[1,0,0]
	v_pk_fma_f16 v48, v38, v20, v49 op_sel:[0,0,1] op_sel_hi:[1,1,0]
	v_pk_fma_f16 v20, v38, v20, v49 op_sel:[0,0,1] op_sel_hi:[1,0,0] neg_lo:[1,0,0] neg_hi:[1,0,0]
	v_pk_fma_f16 v49, v38, v21, v50 op_sel:[0,0,1] op_sel_hi:[1,1,0]
	v_pk_fma_f16 v21, v38, v21, v50 op_sel:[0,0,1] op_sel_hi:[1,0,0] neg_lo:[1,0,0] neg_hi:[1,0,0]
	v_pk_fma_f16 v50, v38, v16, v51 op_sel:[0,0,1] op_sel_hi:[1,1,0]
	v_pk_fma_f16 v16, v38, v16, v51 op_sel:[0,0,1] op_sel_hi:[1,0,0] neg_lo:[1,0,0] neg_hi:[1,0,0]
	v_pk_fma_f16 v51, v38, v17, v52 op_sel:[0,0,1] op_sel_hi:[1,1,0]
	v_pk_fma_f16 v17, v38, v17, v52 op_sel:[0,0,1] op_sel_hi:[1,0,0] neg_lo:[1,0,0] neg_hi:[1,0,0]
	v_pk_fma_f16 v52, v38, v18, v53 op_sel:[0,0,1] op_sel_hi:[1,1,0]
	v_pk_fma_f16 v18, v38, v18, v53 op_sel:[0,0,1] op_sel_hi:[1,0,0] neg_lo:[1,0,0] neg_hi:[1,0,0]
	v_fmac_f16_e32 v46, v35, v38
	v_fma_f16 v36, v36, v38, -v47
	v_bfi_b32 v11, 0xffff, v55, v11
	v_bfi_b32 v20, 0xffff, v48, v20
	;; [unrolled: 1-line block ×7, first 2 shown]
	v_sub_f16_e32 v35, v33, v46
	v_sub_f16_e32 v36, v34, v36
	v_pk_add_f16 v11, v8, v11 neg_lo:[0,1] neg_hi:[0,1]
	v_pk_add_f16 v20, v9, v20 neg_lo:[0,1] neg_hi:[0,1]
	;; [unrolled: 1-line block ×7, first 2 shown]
	v_fma_f16 v33, v33, 2.0, -v35
	v_fma_f16 v34, v34, 2.0, -v36
	v_pk_fma_f16 v8, v8, 2.0, v11 op_sel_hi:[1,0,1] neg_lo:[0,0,1] neg_hi:[0,0,1]
	v_pk_fma_f16 v9, v9, 2.0, v20 op_sel_hi:[1,0,1] neg_lo:[0,0,1] neg_hi:[0,0,1]
	;; [unrolled: 1-line block ×7, first 2 shown]
	ds_store_2addr_b32 v39, v8, v11 offset1:4
	ds_store_2addr_b32 v40, v9, v20 offset1:4
	;; [unrolled: 1-line block ×7, first 2 shown]
	s_and_saveexec_b32 s1, s0
	s_cbranch_execz .LBB0_31
; %bb.30:
	v_and_or_b32 v8, 0x6f8, v24, v37
	v_perm_b32 v9, v34, v33, 0x5040100
	v_perm_b32 v10, v36, v35, 0x5040100
	s_delay_alu instid0(VALU_DEP_3)
	v_lshl_add_u32 v8, v8, 2, 0
	ds_store_2addr_b32 v8, v9, v10 offset1:4
.LBB0_31:
	s_wait_alu 0xfffe
	s_or_b32 exec_lo, exec_lo, s1
	v_add_nc_u32_e32 v12, 0xe00, v0
	v_add_nc_u32_e32 v10, 0xa00, v0
	v_add_nc_u32_e32 v13, 0x200, v0
	v_add_nc_u32_e32 v14, 0x1200, v0
	v_add_nc_u32_e32 v15, 0x600, v0
	v_add_nc_u32_e32 v18, 0x1400, v0
	global_wb scope:SCOPE_SE
	s_wait_dscnt 0x0
	s_barrier_signal -1
	s_barrier_wait -1
	global_inv scope:SCOPE_SE
	ds_load_2addr_b32 v[8:9], v0 offset1:112
	ds_load_2addr_b32 v[10:11], v10 offset0:32 offset1:200
	ds_load_2addr_b32 v[20:21], v12 offset0:56 offset1:168
	;; [unrolled: 1-line block ×6, first 2 shown]
	s_and_saveexec_b32 s1, s0
	s_cbranch_execz .LBB0_33
; %bb.32:
	ds_load_b32 v33, v0 offset:3136
	ds_load_b32 v35, v0 offset:6496
	s_wait_dscnt 0x1
	v_lshrrev_b32_e32 v34, 16, v33
	s_wait_dscnt 0x0
	v_lshrrev_b32_e32 v36, 16, v35
.LBB0_33:
	s_wait_alu 0xfffe
	s_or_b32 exec_lo, exec_lo, s1
	v_and_b32_e32 v37, 7, v3
	s_delay_alu instid0(VALU_DEP_1)
	v_lshlrev_b32_e32 v38, 2, v37
	v_and_or_b32 v29, 0x7f0, v29, v37
	v_and_or_b32 v30, 0x5f0, v30, v37
	;; [unrolled: 1-line block ×4, first 2 shown]
	global_load_b32 v38, v38, s[8:9] offset:24
	v_lshl_add_u32 v39, v29, 2, 0
	v_lshl_add_u32 v40, v30, 2, 0
	v_and_or_b32 v26, 0x3f0, v26, v37
	v_and_or_b32 v27, 0x3f0, v27, v37
	;; [unrolled: 1-line block ×3, first 2 shown]
	v_lshl_add_u32 v32, v32, 2, 0
	v_lshl_add_u32 v25, v25, 2, 0
	;; [unrolled: 1-line block ×5, first 2 shown]
	global_wb scope:SCOPE_SE
	s_wait_loadcnt_dscnt 0x0
	s_barrier_signal -1
	s_barrier_wait -1
	global_inv scope:SCOPE_SE
	v_pk_mul_f16 v41, v38, v11 op_sel:[0,1]
	v_pk_mul_f16 v42, v38, v20 op_sel:[0,1]
	;; [unrolled: 1-line block ×6, first 2 shown]
	v_lshrrev_b32_e32 v30, 16, v38
	v_pk_mul_f16 v46, v38, v18 op_sel:[0,1]
	v_pk_fma_f16 v48, v38, v11, v41 op_sel:[0,0,1] op_sel_hi:[1,1,0]
	v_pk_fma_f16 v11, v38, v11, v41 op_sel:[0,0,1] op_sel_hi:[1,0,0] neg_lo:[1,0,0] neg_hi:[1,0,0]
	v_pk_fma_f16 v41, v38, v20, v42 op_sel:[0,0,1] op_sel_hi:[1,1,0]
	v_pk_fma_f16 v20, v38, v20, v42 op_sel:[0,0,1] op_sel_hi:[1,0,0] neg_lo:[1,0,0] neg_hi:[1,0,0]
	;; [unrolled: 2-line block ×6, first 2 shown]
	v_mul_f16_e32 v29, v36, v30
	v_mul_f16_e32 v30, v35, v30
	v_pk_fma_f16 v45, v38, v18, v46 op_sel:[0,0,1] op_sel_hi:[1,1,0]
	v_pk_fma_f16 v18, v38, v18, v46 op_sel:[0,0,1] op_sel_hi:[1,0,0] neg_lo:[1,0,0] neg_hi:[1,0,0]
	v_bfi_b32 v11, 0xffff, v48, v11
	v_bfi_b32 v20, 0xffff, v41, v20
	;; [unrolled: 1-line block ×6, first 2 shown]
	v_fmac_f16_e32 v29, v35, v38
	v_fma_f16 v35, v36, v38, -v30
	v_bfi_b32 v18, 0xffff, v45, v18
	v_pk_add_f16 v11, v8, v11 neg_lo:[0,1] neg_hi:[0,1]
	v_pk_add_f16 v20, v9, v20 neg_lo:[0,1] neg_hi:[0,1]
	;; [unrolled: 1-line block ×6, first 2 shown]
	v_sub_f16_e32 v30, v33, v29
	v_sub_f16_e32 v29, v34, v35
	v_pk_add_f16 v18, v15, v18 neg_lo:[0,1] neg_hi:[0,1]
	v_pk_fma_f16 v8, v8, 2.0, v11 op_sel_hi:[1,0,1] neg_lo:[0,0,1] neg_hi:[0,0,1]
	v_pk_fma_f16 v9, v9, 2.0, v20 op_sel_hi:[1,0,1] neg_lo:[0,0,1] neg_hi:[0,0,1]
	v_pk_fma_f16 v12, v12, 2.0, v21 op_sel_hi:[1,0,1] neg_lo:[0,0,1] neg_hi:[0,0,1]
	v_pk_fma_f16 v13, v13, 2.0, v16 op_sel_hi:[1,0,1] neg_lo:[0,0,1] neg_hi:[0,0,1]
	v_pk_fma_f16 v14, v14, 2.0, v17 op_sel_hi:[1,0,1] neg_lo:[0,0,1] neg_hi:[0,0,1]
	v_pk_fma_f16 v10, v10, 2.0, v19 op_sel_hi:[1,0,1] neg_lo:[0,0,1] neg_hi:[0,0,1]
	v_pk_fma_f16 v15, v15, 2.0, v18 op_sel_hi:[1,0,1] neg_lo:[0,0,1] neg_hi:[0,0,1]
	ds_store_2addr_b32 v32, v8, v11 offset1:8
	ds_store_2addr_b32 v25, v9, v20 offset1:8
	;; [unrolled: 1-line block ×7, first 2 shown]
	s_and_saveexec_b32 s1, s0
	s_cbranch_execz .LBB0_35
; %bb.34:
	v_and_or_b32 v8, 0x6f0, v24, v37
	v_fma_f16 v9, v33, 2.0, -v30
	v_fma_f16 v10, v34, 2.0, -v29
	s_delay_alu instid0(VALU_DEP_3) | instskip(NEXT) | instid1(VALU_DEP_2)
	v_lshl_add_u32 v8, v8, 2, 0
	v_pack_b32_f16 v9, v9, v10
	v_perm_b32 v10, v29, v30, 0x5040100
	ds_store_2addr_b32 v8, v9, v10 offset1:8
.LBB0_35:
	s_wait_alu 0xfffe
	s_or_b32 exec_lo, exec_lo, s1
	v_and_b32_e32 v24, 15, v3
	global_wb scope:SCOPE_SE
	s_wait_dscnt 0x0
	s_barrier_signal -1
	s_barrier_wait -1
	global_inv scope:SCOPE_SE
	v_lshlrev_b32_e32 v8, 3, v24
	v_add_nc_u32_e32 v25, 0x600, v0
	v_add_nc_u32_e32 v14, 0x1000, v0
	;; [unrolled: 1-line block ×4, first 2 shown]
	global_load_b64 v[10:11], v8, s[8:9] offset:56
	v_add_nc_u32_e32 v20, 0x1400, v0
	ds_load_2addr_b32 v[12:13], v0 offset1:112
	v_add_nc_u32_e32 v27, 0xc00, v0
	ds_load_b32 v33, v0 offset:6272
	v_lshrrev_b32_e32 v36, 4, v23
	v_lshrrev_b32_e32 v37, 4, v22
	ds_load_2addr_b32 v[8:9], v25 offset0:64 offset1:176
	ds_load_2addr_b32 v[14:15], v14 offset0:96 offset1:208
	;; [unrolled: 1-line block ×6, first 2 shown]
	v_lshrrev_b32_e32 v31, 4, v3
	v_lshrrev_b32_e32 v34, 4, v28
	;; [unrolled: 1-line block ×3, first 2 shown]
	v_add_nc_u32_e32 v38, 0xe00, v0
	v_add_nc_u32_e32 v39, 0x1200, v0
	v_mul_u32_u24_e32 v27, 48, v31
	v_mul_u32_u24_e32 v31, 48, v34
	;; [unrolled: 1-line block ×5, first 2 shown]
	v_or_b32_e32 v27, v27, v24
	v_or_b32_e32 v31, v31, v24
	;; [unrolled: 1-line block ×4, first 2 shown]
	s_wait_dscnt 0x5
	v_lshrrev_b32_e32 v48, 16, v9
	s_wait_dscnt 0x4
	v_lshrrev_b32_e32 v49, 16, v14
	;; [unrolled: 2-line block ×3, first 2 shown]
	v_lshrrev_b32_e32 v52, 16, v15
	v_lshrrev_b32_e32 v42, 16, v33
	s_wait_dscnt 0x0
	v_lshrrev_b32_e32 v45, 16, v22
	v_lshrrev_b32_e32 v46, 16, v21
	;; [unrolled: 1-line block ×7, first 2 shown]
	v_or_b32_e32 v24, v36, v24
	v_lshl_add_u32 v36, v31, 2, 0
	v_lshrrev_b32_e32 v43, 16, v18
	v_lshrrev_b32_e32 v44, 16, v19
	v_lshrrev_b32_e32 v31, 16, v8
	v_lshl_add_u32 v27, v27, 2, 0
	v_lshl_add_u32 v34, v34, 2, 0
	;; [unrolled: 1-line block ×3, first 2 shown]
	v_add_nc_u32_e32 v40, 0x1600, v0
	global_wb scope:SCOPE_SE
	s_wait_loadcnt 0x0
	s_barrier_signal -1
	s_barrier_wait -1
	global_inv scope:SCOPE_SE
	v_lshl_add_u32 v35, v35, 2, 0
	v_cmp_gt_u32_e64 s0, 16, v3
	v_lshrrev_b32_e32 v51, 16, v10
	v_lshrrev_b32_e32 v53, 16, v11
	s_delay_alu instid0(VALU_DEP_2) | instskip(SKIP_1) | instid1(VALU_DEP_3)
	v_mul_f16_e32 v56, v51, v48
	v_mul_f16_e32 v57, v51, v9
	;; [unrolled: 1-line block ×20, first 2 shown]
	v_fmac_f16_e32 v56, v10, v9
	v_fma_f16 v9, v10, v48, -v57
	v_fmac_f16_e32 v58, v11, v14
	v_fma_f16 v14, v11, v49, -v59
	v_fmac_f16_e32 v60, v10, v16
	v_fma_f16 v16, v10, v50, -v61
	v_fmac_f16_e32 v62, v11, v15
	v_fma_f16 v15, v11, v52, -v63
	v_fmac_f16_e32 v64, v10, v17
	v_fma_f16 v17, v10, v54, -v65
	v_fmac_f16_e32 v66, v11, v20
	v_fma_f16 v20, v11, v55, -v67
	v_fmac_f16_e32 v68, v22, v10
	v_fma_f16 v22, v45, v10, -v69
	v_fmac_f16_e32 v70, v21, v11
	v_fma_f16 v21, v46, v11, -v71
	v_fmac_f16_e32 v72, v23, v10
	v_fma_f16 v10, v47, v10, -v51
	v_fmac_f16_e32 v73, v33, v11
	v_fma_f16 v11, v42, v11, -v53
	v_add_f16_e32 v33, v56, v58
	v_sub_f16_e32 v42, v9, v14
	v_add_f16_e32 v45, v37, v9
	v_add_f16_e32 v9, v9, v14
	;; [unrolled: 1-line block ×3, first 2 shown]
	v_sub_f16_e32 v49, v16, v15
	v_add_f16_e32 v50, v41, v16
	v_add_f16_e32 v16, v16, v15
	;; [unrolled: 1-line block ×3, first 2 shown]
	v_sub_f16_e32 v51, v60, v62
	v_add_f16_e32 v53, v64, v66
	v_sub_f16_e32 v54, v17, v20
	v_add_f16_e32 v55, v43, v17
	v_add_f16_e32 v17, v17, v20
	;; [unrolled: 1-line block ×4, first 2 shown]
	v_sub_f16_e32 v60, v22, v21
	v_add_f16_e32 v61, v44, v22
	v_add_f16_e32 v22, v22, v21
	v_sub_f16_e32 v63, v68, v70
	v_add_f16_e32 v65, v72, v73
	v_sub_f16_e32 v67, v10, v11
	v_add_f16_e32 v68, v31, v10
	v_add_f16_e32 v10, v10, v11
	;; [unrolled: 1-line block ×3, first 2 shown]
	v_sub_f16_e32 v46, v56, v58
	v_fma_f16 v12, -0.5, v33, v12
	v_fmac_f16_e32 v37, -0.5, v9
	v_add_f16_e32 v52, v18, v64
	v_fmac_f16_e32 v13, -0.5, v48
	v_fmac_f16_e32 v41, -0.5, v16
	v_sub_f16_e32 v56, v64, v66
	v_add_f16_e32 v64, v8, v72
	v_sub_f16_e32 v69, v72, v73
	v_fma_f16 v18, -0.5, v53, v18
	v_fmac_f16_e32 v43, -0.5, v17
	v_fmac_f16_e32 v19, -0.5, v59
	;; [unrolled: 1-line block ×5, first 2 shown]
	v_add_f16_e32 v23, v23, v58
	v_add_f16_e32 v14, v45, v14
	v_fmamk_f16 v10, v42, 0xbaee, v12
	v_fmamk_f16 v33, v46, 0x3aee, v37
	v_fmac_f16_e32 v12, 0x3aee, v42
	v_fmac_f16_e32 v37, 0xbaee, v46
	v_add_f16_e32 v9, v47, v62
	v_add_f16_e32 v15, v50, v15
	;; [unrolled: 1-line block ×6, first 2 shown]
	v_fmamk_f16 v42, v49, 0xbaee, v13
	v_fmamk_f16 v45, v51, 0x3aee, v41
	v_fmac_f16_e32 v13, 0x3aee, v49
	v_fmac_f16_e32 v41, 0xbaee, v51
	v_add_f16_e32 v22, v64, v73
	v_add_f16_e32 v11, v68, v11
	v_fmamk_f16 v46, v54, 0xbaee, v18
	v_fmac_f16_e32 v18, 0x3aee, v54
	v_fmamk_f16 v47, v56, 0x3aee, v43
	v_fmac_f16_e32 v43, 0xbaee, v56
	;; [unrolled: 2-line block ×6, first 2 shown]
	v_pack_b32_f16 v14, v23, v14
	v_pack_b32_f16 v10, v10, v33
	;; [unrolled: 1-line block ×15, first 2 shown]
	ds_store_2addr_b32 v27, v14, v10 offset1:16
	ds_store_b32 v27, v12 offset:128
	ds_store_2addr_b32 v36, v9, v17 offset1:16
	ds_store_b32 v36, v13 offset:128
	;; [unrolled: 2-line block ×5, first 2 shown]
	global_wb scope:SCOPE_SE
	s_wait_dscnt 0x0
	s_barrier_signal -1
	s_barrier_wait -1
	global_inv scope:SCOPE_SE
	ds_load_2addr_b32 v[14:15], v0 offset1:112
	ds_load_2addr_b32 v[26:27], v26 offset0:112 offset1:224
	ds_load_2addr_b32 v[24:25], v25 offset0:96 offset1:208
	;; [unrolled: 1-line block ×6, first 2 shown]
                                        ; implicit-def: $vgpr32
                                        ; implicit-def: $vgpr10
                                        ; implicit-def: $vgpr33
                                        ; implicit-def: $vgpr12
                                        ; implicit-def: $vgpr34
                                        ; implicit-def: $vgpr35
                                        ; implicit-def: $vgpr36
                                        ; implicit-def: $vgpr37
	s_and_saveexec_b32 s1, s0
	s_cbranch_execz .LBB0_37
; %bb.36:
	v_add_nc_u32_e32 v8, 0x380, v0
	v_add_nc_u32_e32 v10, 0xb00, v0
	;; [unrolled: 1-line block ×3, first 2 shown]
	ds_load_b32 v35, v0 offset:6656
	ds_load_2addr_b32 v[8:9], v8 offset1:240
	ds_load_2addr_b32 v[10:11], v10 offset1:240
	;; [unrolled: 1-line block ×3, first 2 shown]
	s_wait_dscnt 0x3
	v_lshrrev_b32_e32 v34, 16, v35
	s_wait_dscnt 0x2
	v_lshrrev_b32_e32 v31, 16, v8
	v_lshrrev_b32_e32 v29, 16, v9
	s_wait_dscnt 0x1
	v_lshrrev_b32_e32 v32, 16, v10
	;; [unrolled: 3-line block ×3, first 2 shown]
	v_lshrrev_b32_e32 v36, 16, v13
	v_mov_b32_e32 v30, v9
.LBB0_37:
	s_wait_alu 0xfffe
	s_or_b32 exec_lo, exec_lo, s1
	v_and_b32_e32 v9, 0xff, v3
	v_and_b32_e32 v38, 0xff, v28
	s_wait_dscnt 0x5
	v_lshrrev_b32_e32 v57, 16, v26
	s_wait_dscnt 0x4
	v_lshrrev_b32_e32 v58, 16, v24
	;; [unrolled: 2-line block ×3, first 2 shown]
	v_mul_lo_u16 v9, 0xab, v9
	v_mul_lo_u16 v38, 0xab, v38
	s_wait_dscnt 0x0
	v_lshrrev_b32_e32 v62, 16, v16
	v_lshrrev_b32_e32 v55, 16, v19
	;; [unrolled: 1-line block ×3, first 2 shown]
	v_lshrrev_b16 v9, 13, v9
	v_lshrrev_b16 v50, 13, v38
	v_lshrrev_b32_e32 v59, 16, v22
	v_lshrrev_b32_e32 v60, 16, v20
	;; [unrolled: 1-line block ×3, first 2 shown]
	v_mul_lo_u16 v39, v9, 48
	v_and_b32_e32 v9, 0xffff, v9
	v_lshrrev_b32_e32 v64, 16, v25
	v_lshrrev_b32_e32 v53, 16, v23
	;; [unrolled: 1-line block ×3, first 2 shown]
	v_sub_nc_u16 v38, v3, v39
	v_mul_lo_u16 v39, v50, 48
	v_and_b32_e32 v50, 0xffff, v50
	v_mul_u32_u24_e32 v9, 0x540, v9
	v_lshrrev_b32_e32 v65, 16, v14
	v_and_b32_e32 v51, 0xff, v38
	v_sub_nc_u16 v38, v28, v39
	v_mul_u32_u24_e32 v50, 0x540, v50
	v_lshrrev_b32_e32 v66, 16, v15
	s_delay_alu instid0(VALU_DEP_4) | instskip(NEXT) | instid1(VALU_DEP_4)
	v_mul_u32_u24_e32 v39, 6, v51
	v_and_b32_e32 v52, 0xff, v38
	v_lshlrev_b32_e32 v51, 2, v51
	s_delay_alu instid0(VALU_DEP_3) | instskip(NEXT) | instid1(VALU_DEP_3)
	v_lshlrev_b32_e32 v42, 2, v39
	v_mul_u32_u24_e32 v43, 6, v52
	v_lshlrev_b32_e32 v52, 2, v52
	s_delay_alu instid0(VALU_DEP_4)
	v_add3_u32 v9, 0, v9, v51
	global_load_b128 v[38:41], v42, s[8:9] offset:184
	v_lshlrev_b32_e32 v48, 2, v43
	v_add3_u32 v50, 0, v50, v52
	s_clause 0x2
	global_load_b64 v[46:47], v42, s[8:9] offset:200
	global_load_b128 v[42:45], v48, s[8:9] offset:184
	global_load_b64 v[48:49], v48, s[8:9] offset:200
	global_wb scope:SCOPE_SE
	s_wait_loadcnt 0x0
	s_barrier_signal -1
	s_barrier_wait -1
	global_inv scope:SCOPE_SE
	v_lshrrev_b32_e32 v51, 16, v38
	v_lshrrev_b32_e32 v52, 16, v39
	;; [unrolled: 1-line block ×12, first 2 shown]
	v_mul_f16_e32 v77, v51, v57
	v_mul_f16_e32 v51, v51, v26
	;; [unrolled: 1-line block ×24, first 2 shown]
	v_fmac_f16_e32 v77, v38, v26
	v_fma_f16 v26, v38, v57, -v51
	v_fmac_f16_e32 v78, v39, v24
	v_fma_f16 v24, v39, v58, -v52
	;; [unrolled: 2-line block ×12, first 2 shown]
	v_add_f16_e32 v38, v77, v82
	v_add_f16_e32 v39, v26, v16
	v_sub_f16_e32 v16, v26, v16
	v_add_f16_e32 v26, v78, v81
	v_add_f16_e32 v41, v24, v18
	v_sub_f16_e32 v42, v78, v81
	v_sub_f16_e32 v18, v24, v18
	v_add_f16_e32 v24, v79, v80
	v_add_f16_e32 v43, v22, v20
	v_sub_f16_e32 v44, v80, v79
	;; [unrolled: 4-line block ×3, first 2 shown]
	v_add_f16_e32 v27, v84, v87
	v_add_f16_e32 v47, v25, v19
	v_sub_f16_e32 v19, v25, v19
	v_add_f16_e32 v25, v85, v86
	v_add_f16_e32 v49, v23, v21
	v_sub_f16_e32 v21, v21, v23
	;; [unrolled: 3-line block ×3, first 2 shown]
	v_sub_f16_e32 v48, v84, v87
	v_sub_f16_e32 v51, v86, v85
	;; [unrolled: 1-line block ×8, first 2 shown]
	v_add_f16_e32 v55, v44, v42
	v_add_f16_e32 v56, v20, v18
	v_sub_f16_e32 v57, v44, v42
	v_sub_f16_e32 v58, v20, v18
	;; [unrolled: 1-line block ×3, first 2 shown]
	v_add_f16_e32 v59, v27, v22
	v_add_f16_e32 v60, v47, v45
	v_sub_f16_e32 v46, v83, v88
	v_sub_f16_e32 v61, v27, v22
	;; [unrolled: 1-line block ×3, first 2 shown]
	v_add_f16_e32 v64, v21, v19
	v_sub_f16_e32 v68, v21, v19
	v_sub_f16_e32 v19, v19, v17
	v_add_f16_e32 v23, v24, v23
	v_add_f16_e32 v24, v43, v52
	v_sub_f16_e32 v42, v42, v40
	v_sub_f16_e32 v44, v40, v44
	v_sub_f16_e32 v20, v16, v20
	v_sub_f16_e32 v62, v47, v45
	v_sub_f16_e32 v22, v22, v25
	v_sub_f16_e32 v45, v45, v49
	v_sub_f16_e32 v47, v49, v47
	v_add_f16_e32 v63, v51, v48
	v_sub_f16_e32 v67, v51, v48
	v_add_f16_e32 v40, v55, v40
	v_add_f16_e32 v16, v56, v16
	v_mul_f16_e32 v38, 0x3a52, v38
	v_mul_f16_e32 v39, 0x3a52, v39
	;; [unrolled: 1-line block ×7, first 2 shown]
	v_add_f16_e32 v25, v25, v59
	v_add_f16_e32 v49, v49, v60
	v_sub_f16_e32 v21, v17, v21
	v_sub_f16_e32 v48, v48, v46
	v_add_f16_e32 v17, v64, v17
	v_mul_f16_e32 v59, 0x2b26, v27
	v_mul_f16_e32 v64, 0x3846, v68
	;; [unrolled: 1-line block ×3, first 2 shown]
	v_add_f16_e32 v14, v23, v14
	v_add_f16_e32 v65, v24, v65
	v_mul_f16_e32 v57, 0xbb00, v42
	v_sub_f16_e32 v51, v46, v51
	v_add_f16_e32 v46, v63, v46
	v_mul_f16_e32 v22, 0x3a52, v22
	v_mul_f16_e32 v45, 0x3a52, v45
	;; [unrolled: 1-line block ×3, first 2 shown]
	v_fmamk_f16 v26, v26, 0x2b26, v38
	v_fmamk_f16 v41, v41, 0x2b26, v39
	v_fma_f16 v43, v53, 0x39e0, -v43
	v_fma_f16 v52, v54, 0x39e0, -v52
	;; [unrolled: 1-line block ×4, first 2 shown]
	v_fmamk_f16 v53, v44, 0xb574, v55
	v_fmamk_f16 v54, v20, 0xb574, v56
	v_fma_f16 v42, v42, 0xbb00, -v55
	v_fma_f16 v18, v18, 0xbb00, -v56
	;; [unrolled: 1-line block ×3, first 2 shown]
	v_add_f16_e32 v15, v25, v15
	v_add_f16_e32 v55, v49, v66
	v_mul_f16_e32 v60, 0x2b26, v47
	v_mul_f16_e32 v67, 0xbb00, v48
	v_fma_f16 v56, v61, 0x39e0, -v59
	v_fmamk_f16 v59, v21, 0xb574, v64
	v_fma_f16 v19, v19, 0xbb00, -v64
	v_fma_f16 v21, v21, 0x3574, -v68
	v_fmamk_f16 v23, v23, 0xbcab, v14
	v_fmamk_f16 v24, v24, 0xbcab, v65
	v_fma_f16 v44, v44, 0x3574, -v57
	v_fmamk_f16 v27, v27, 0x2b26, v22
	v_fmamk_f16 v47, v47, 0x2b26, v45
	;; [unrolled: 1-line block ×3, first 2 shown]
	v_fmac_f16_e32 v54, 0xb70e, v16
	v_fmac_f16_e32 v18, 0xb70e, v16
	;; [unrolled: 1-line block ×3, first 2 shown]
	v_fmamk_f16 v16, v25, 0xbcab, v15
	v_fmamk_f16 v25, v49, 0xbcab, v55
	v_fma_f16 v57, v62, 0x39e0, -v60
	v_fma_f16 v22, v61, 0xb9e0, -v22
	;; [unrolled: 1-line block ×5, first 2 shown]
	v_fmac_f16_e32 v53, 0xb70e, v40
	v_fmac_f16_e32 v59, 0xb70e, v17
	;; [unrolled: 1-line block ×4, first 2 shown]
	v_add_f16_e32 v17, v26, v23
	v_add_f16_e32 v26, v41, v24
	v_fmac_f16_e32 v42, 0xb70e, v40
	v_fmac_f16_e32 v44, 0xb70e, v40
	v_add_f16_e32 v40, v43, v23
	v_add_f16_e32 v41, v52, v24
	;; [unrolled: 1-line block ×4, first 2 shown]
	v_fmac_f16_e32 v58, 0xb70e, v46
	v_add_f16_e32 v27, v27, v16
	v_add_f16_e32 v38, v47, v25
	v_fmac_f16_e32 v48, 0xb70e, v46
	v_fmac_f16_e32 v51, 0xb70e, v46
	v_add_f16_e32 v39, v56, v16
	v_add_f16_e32 v43, v57, v25
	;; [unrolled: 1-line block ×5, first 2 shown]
	v_sub_f16_e32 v45, v26, v53
	v_add_f16_e32 v46, v20, v23
	v_sub_f16_e32 v47, v24, v44
	v_sub_f16_e32 v49, v40, v18
	v_add_f16_e32 v52, v42, v41
	v_add_f16_e32 v18, v18, v40
	v_sub_f16_e32 v40, v41, v42
	v_sub_f16_e32 v20, v23, v20
	v_add_f16_e32 v23, v44, v24
	v_sub_f16_e32 v17, v17, v54
	v_add_f16_e32 v24, v53, v26
	v_add_f16_e32 v26, v59, v27
	v_sub_f16_e32 v41, v38, v58
	v_pack_b32_f16 v14, v14, v65
	v_add_f16_e32 v42, v21, v16
	v_sub_f16_e32 v44, v22, v51
	v_sub_f16_e32 v53, v39, v19
	v_add_f16_e32 v54, v48, v43
	v_add_f16_e32 v19, v19, v39
	v_sub_f16_e32 v39, v43, v48
	v_sub_f16_e32 v16, v16, v21
	v_add_f16_e32 v21, v51, v22
	v_sub_f16_e32 v22, v27, v59
	v_add_f16_e32 v27, v58, v38
	v_pack_b32_f16 v25, v25, v45
	v_pack_b32_f16 v38, v46, v47
	;; [unrolled: 1-line block ×13, first 2 shown]
	ds_store_2addr_b32 v9, v14, v25 offset1:48
	ds_store_2addr_b32 v9, v38, v43 offset0:96 offset1:144
	ds_store_2addr_b32 v9, v18, v20 offset0:192 offset1:240
	ds_store_b32 v9, v17 offset:1152
	ds_store_2addr_b32 v50, v15, v23 offset1:48
	ds_store_2addr_b32 v50, v24, v26 offset0:96 offset1:144
	ds_store_2addr_b32 v50, v19, v16 offset0:192 offset1:240
	ds_store_b32 v50, v21 offset:1152
	s_and_saveexec_b32 s1, s0
	s_cbranch_execz .LBB0_39
; %bb.38:
	v_and_b32_e32 v9, 0xffff, v4
	s_delay_alu instid0(VALU_DEP_1) | instskip(NEXT) | instid1(VALU_DEP_1)
	v_mul_u32_u24_e32 v9, 0xaaab, v9
	v_lshrrev_b32_e32 v9, 21, v9
	s_delay_alu instid0(VALU_DEP_1) | instskip(NEXT) | instid1(VALU_DEP_1)
	v_mul_lo_u16 v9, v9, 48
	v_sub_nc_u16 v9, v4, v9
	s_delay_alu instid0(VALU_DEP_1) | instskip(NEXT) | instid1(VALU_DEP_1)
	v_and_b32_e32 v9, 0xffff, v9
	v_mul_u32_u24_e32 v14, 6, v9
	v_lshl_add_u32 v9, v9, 2, 0
	s_delay_alu instid0(VALU_DEP_2) | instskip(NEXT) | instid1(VALU_DEP_2)
	v_lshlrev_b32_e32 v18, 2, v14
	v_add_nc_u32_e32 v20, 0x1400, v9
	v_add_nc_u32_e32 v21, 0x1800, v9
	s_clause 0x1
	global_load_b128 v[14:17], v18, s[8:9] offset:184
	global_load_b64 v[18:19], v18, s[8:9] offset:200
	s_wait_loadcnt 0x1
	v_lshrrev_b32_e32 v22, 16, v14
	v_lshrrev_b32_e32 v23, 16, v15
	s_wait_loadcnt 0x0
	v_lshrrev_b32_e32 v24, 16, v19
	v_lshrrev_b32_e32 v26, 16, v16
	;; [unrolled: 1-line block ×4, first 2 shown]
	v_mul_f16_e32 v38, v29, v22
	v_mul_f16_e32 v39, v34, v24
	;; [unrolled: 1-line block ×12, first 2 shown]
	v_fmac_f16_e32 v38, v30, v14
	v_fmac_f16_e32 v39, v35, v19
	;; [unrolled: 1-line block ×5, first 2 shown]
	v_fma_f16 v10, v34, v19, -v24
	v_fma_f16 v11, v29, v14, -v22
	;; [unrolled: 1-line block ×4, first 2 shown]
	v_fmac_f16_e32 v40, v12, v17
	v_fma_f16 v12, v37, v16, -v26
	v_fma_f16 v13, v33, v17, -v25
	v_add_f16_e32 v19, v11, v10
	v_add_f16_e32 v23, v15, v14
	;; [unrolled: 1-line block ×4, first 2 shown]
	v_sub_f16_e32 v16, v38, v39
	v_sub_f16_e32 v17, v40, v41
	;; [unrolled: 1-line block ×3, first 2 shown]
	v_add_f16_e32 v22, v12, v13
	v_add_f16_e32 v25, v41, v40
	v_sub_f16_e32 v10, v11, v10
	v_sub_f16_e32 v11, v13, v12
	;; [unrolled: 1-line block ×3, first 2 shown]
	v_add_f16_e32 v29, v23, v19
	v_add_f16_e32 v33, v26, v24
	v_sub_f16_e32 v13, v16, v17
	v_sub_f16_e32 v14, v17, v18
	v_add_f16_e32 v15, v17, v18
	v_sub_f16_e32 v17, v19, v22
	v_sub_f16_e32 v27, v22, v23
	;; [unrolled: 1-line block ×6, first 2 shown]
	v_add_f16_e32 v11, v11, v12
	v_sub_f16_e32 v18, v18, v16
	v_sub_f16_e32 v12, v12, v10
	v_add_f16_e32 v22, v22, v29
	v_add_f16_e32 v25, v25, v33
	v_sub_f16_e32 v19, v23, v19
	v_sub_f16_e32 v23, v26, v24
	v_mul_f16_e32 v14, 0x3846, v14
	v_add_f16_e32 v15, v15, v16
	v_mul_f16_e32 v16, 0x3a52, v17
	v_mul_f16_e32 v17, 0x2b26, v27
	;; [unrolled: 1-line block ×4, first 2 shown]
	v_add_f16_e32 v10, v11, v10
	v_mul_f16_e32 v11, 0xbb00, v18
	v_mul_f16_e32 v30, 0xbb00, v12
	v_add_f16_e32 v31, v31, v22
	v_add_f16_e32 v8, v8, v25
	v_mul_f16_e32 v26, 0x2b26, v32
	v_fmamk_f16 v33, v13, 0xb574, v14
	v_fmamk_f16 v27, v27, 0x2b26, v16
	v_fmamk_f16 v32, v32, 0x2b26, v24
	v_fmamk_f16 v35, v34, 0xb574, v29
	v_fma_f16 v11, v13, 0x3574, -v11
	v_fma_f16 v13, v19, 0xb9e0, -v16
	;; [unrolled: 1-line block ×7, first 2 shown]
	v_fmamk_f16 v19, v22, 0xbcab, v31
	v_fmamk_f16 v22, v25, 0xbcab, v8
	v_fma_f16 v18, v23, 0x39e0, -v26
	v_fmac_f16_e32 v33, 0xb70e, v15
	v_fmac_f16_e32 v35, 0xb70e, v10
	;; [unrolled: 1-line block ×6, first 2 shown]
	v_add_f16_e32 v10, v27, v19
	v_add_f16_e32 v15, v32, v22
	;; [unrolled: 1-line block ×8, first 2 shown]
	v_sub_f16_e32 v11, v13, v11
	v_sub_f16_e32 v10, v10, v33
	v_add_f16_e32 v13, v35, v15
	v_sub_f16_e32 v22, v15, v35
	v_sub_f16_e32 v25, v17, v14
	v_add_f16_e32 v14, v14, v17
	v_add_f16_e32 v15, v24, v16
	v_sub_f16_e32 v17, v18, v12
	v_add_f16_e32 v12, v12, v18
	v_sub_f16_e32 v16, v16, v24
	v_pack_b32_f16 v8, v8, v31
	v_pack_b32_f16 v10, v13, v10
	;; [unrolled: 1-line block ×7, first 2 shown]
	ds_store_2addr_b32 v20, v8, v10 offset0:64 offset1:112
	ds_store_2addr_b32 v20, v11, v13 offset0:160 offset1:208
	ds_store_2addr_b32 v21, v12, v14 offset1:48
	ds_store_b32 v9, v15 offset:6528
.LBB0_39:
	s_wait_alu 0xfffe
	s_or_b32 exec_lo, exec_lo, s1
	v_mov_b32_e32 v8, 0
	global_wb scope:SCOPE_SE
	s_wait_dscnt 0x0
	s_barrier_signal -1
	s_barrier_wait -1
	global_inv scope:SCOPE_SE
	v_lshlrev_b64_e32 v[9:10], 2, v[7:8]
	v_lshlrev_b32_e32 v7, 2, v28
	v_add_nc_u32_e32 v15, 0xa00, v0
	v_add_nc_u32_e32 v13, 0x1000, v0
	;; [unrolled: 1-line block ×4, first 2 shown]
	v_add_co_u32 v9, s0, s8, v9
	v_lshlrev_b64_e32 v[11:12], 2, v[7:8]
	s_wait_alu 0xf1ff
	v_add_co_ci_u32_e64 v10, s0, s9, v10, s0
	v_lshlrev_b32_e32 v7, 2, v4
	v_add_nc_u32_e32 v4, 0x200, v0
	global_load_b128 v[19:22], v[9:10], off offset:1336
	v_add_co_u32 v9, s0, s8, v11
	s_wait_alu 0xf1ff
	v_add_co_ci_u32_e64 v10, s0, s9, v12, s0
	global_load_b128 v[23:26], v[9:10], off offset:1336
	v_lshlrev_b64_e32 v[9:10], 2, v[7:8]
	v_add_nc_u32_e32 v7, 0xc00, v0
	s_delay_alu instid0(VALU_DEP_2) | instskip(SKIP_1) | instid1(VALU_DEP_3)
	v_add_co_u32 v9, s0, s8, v9
	s_wait_alu 0xf1ff
	v_add_co_ci_u32_e64 v10, s0, s9, v10, s0
	global_load_b128 v[27:30], v[9:10], off offset:1336
	ds_load_2addr_b32 v[9:10], v0 offset1:112
	ds_load_b32 v41, v0 offset:6272
	ds_load_2addr_b32 v[31:32], v15 offset0:32 offset1:144
	ds_load_2addr_b32 v[33:34], v13 offset0:96 offset1:208
	;; [unrolled: 1-line block ×6, first 2 shown]
	ds_load_u16 v42, v0 offset:1794
	global_wb scope:SCOPE_SE
	s_wait_loadcnt_dscnt 0x0
	s_barrier_signal -1
	s_barrier_wait -1
	global_inv scope:SCOPE_SE
	v_lshrrev_b32_e32 v44, 16, v41
	v_lshrrev_b32_e32 v52, 16, v31
	;; [unrolled: 1-line block ×18, first 2 shown]
	s_delay_alu instid0(VALU_DEP_4)
	v_mul_f16_e32 v59, v55, v51
	v_mul_f16_e32 v55, v55, v12
	;; [unrolled: 1-line block ×8, first 2 shown]
	v_lshrrev_b32_e32 v63, 16, v23
	v_lshrrev_b32_e32 v64, 16, v24
	;; [unrolled: 1-line block ×4, first 2 shown]
	v_fmac_f16_e32 v59, v19, v12
	v_fma_f16 v12, v19, v51, -v55
	v_fmac_f16_e32 v60, v20, v31
	v_fma_f16 v19, v20, v52, -v56
	;; [unrolled: 2-line block ×4, first 2 shown]
	v_mul_f16_e32 v22, v42, v63
	v_mul_f16_e32 v31, v63, v37
	;; [unrolled: 1-line block ×8, first 2 shown]
	v_lshrrev_b32_e32 v55, 16, v27
	v_lshrrev_b32_e32 v56, 16, v28
	;; [unrolled: 1-line block ×4, first 2 shown]
	v_fmac_f16_e32 v22, v23, v37
	v_fma_f16 v23, v42, v23, -v31
	v_fmac_f16_e32 v35, v32, v24
	v_fma_f16 v24, v45, v24, -v40
	;; [unrolled: 2-line block ×4, first 2 shown]
	v_mul_f16_e32 v31, v48, v55
	v_mul_f16_e32 v32, v38, v55
	;; [unrolled: 1-line block ×8, first 2 shown]
	v_add_f16_e32 v47, v60, v61
	v_sub_f16_e32 v55, v59, v60
	v_sub_f16_e32 v56, v62, v61
	v_add_f16_e32 v57, v59, v62
	v_add_f16_e32 v64, v43, v12
	;; [unrolled: 1-line block ×5, first 2 shown]
	v_sub_f16_e32 v52, v12, v21
	v_sub_f16_e32 v54, v19, v20
	;; [unrolled: 1-line block ×9, first 2 shown]
	v_fmac_f16_e32 v31, v38, v27
	v_fma_f16 v27, v48, v27, -v32
	v_fmac_f16_e32 v33, v39, v28
	v_fma_f16 v28, v49, v28, -v36
	;; [unrolled: 2-line block ×4, first 2 shown]
	v_fma_f16 v34, -0.5, v47, v9
	v_add_f16_e32 v36, v55, v56
	v_fma_f16 v9, -0.5, v57, v9
	v_add_f16_e32 v19, v64, v19
	v_fma_f16 v39, -0.5, v65, v43
	v_fmac_f16_e32 v43, -0.5, v69
	v_add_f16_e32 v41, v10, v22
	v_add_f16_e32 v44, v35, v51
	v_sub_f16_e32 v47, v22, v35
	v_sub_f16_e32 v48, v53, v51
	v_add_f16_e32 v49, v22, v53
	v_sub_f16_e32 v50, v35, v22
	v_sub_f16_e32 v55, v51, v53
	v_add_f16_e32 v56, v18, v23
	v_add_f16_e32 v57, v24, v25
	v_add_f16_e32 v64, v23, v26
	v_sub_f16_e32 v59, v59, v62
	v_add_f16_e32 v32, v46, v60
	v_add_f16_e32 v38, v58, v63
	;; [unrolled: 1-line block ×4, first 2 shown]
	v_sub_f16_e32 v45, v23, v26
	v_sub_f16_e32 v46, v24, v25
	;; [unrolled: 1-line block ×7, first 2 shown]
	v_fmamk_f16 v67, v54, 0x3b9c, v9
	v_fmac_f16_e32 v9, 0xbb9c, v54
	v_add_f16_e32 v19, v19, v20
	v_fmamk_f16 v68, v66, 0xbb9c, v43
	v_fmac_f16_e32 v43, 0x3b9c, v66
	v_add_f16_e32 v35, v41, v35
	v_fma_f16 v41, -0.5, v44, v10
	v_add_f16_e32 v44, v47, v48
	v_fmac_f16_e32 v10, -0.5, v49
	v_add_f16_e32 v47, v50, v55
	v_add_f16_e32 v24, v56, v24
	v_fma_f16 v48, -0.5, v57, v18
	v_fmac_f16_e32 v18, -0.5, v64
	v_add_f16_e32 v50, v11, v31
	v_add_f16_e32 v55, v33, v37
	;; [unrolled: 1-line block ×4, first 2 shown]
	v_sub_f16_e32 v22, v22, v53
	v_add_f16_e32 v64, v31, v42
	v_add_f16_e32 v75, v27, v30
	;; [unrolled: 1-line block ×3, first 2 shown]
	v_fmamk_f16 v61, v52, 0xbb9c, v34
	v_fmac_f16_e32 v34, 0x3b9c, v52
	v_fmamk_f16 v20, v59, 0x3b9c, v39
	v_fmac_f16_e32 v39, 0xbb9c, v59
	v_add_f16_e32 v49, v60, v63
	v_add_f16_e32 v23, v23, v65
	v_sub_f16_e32 v56, v27, v30
	v_sub_f16_e32 v57, v28, v29
	;; [unrolled: 1-line block ×8, first 2 shown]
	v_fmac_f16_e32 v67, 0xb8b4, v52
	v_fmac_f16_e32 v9, 0x38b4, v52
	v_add_f16_e32 v19, v19, v21
	v_fmac_f16_e32 v68, 0x38b4, v59
	v_fmac_f16_e32 v43, 0xb8b4, v59
	v_add_f16_e32 v21, v35, v51
	v_fmamk_f16 v51, v46, 0x3b9c, v10
	v_add_f16_e32 v24, v24, v25
	v_fmamk_f16 v52, v58, 0xbb9c, v18
	v_add_f16_e32 v33, v50, v33
	v_fma_f16 v50, -0.5, v55, v11
	v_add_f16_e32 v28, v70, v28
	v_fma_f16 v59, -0.5, v71, v17
	v_fmamk_f16 v35, v45, 0xbb9c, v41
	v_fmac_f16_e32 v41, 0x3b9c, v45
	v_fmamk_f16 v25, v22, 0x3b9c, v48
	v_fmac_f16_e32 v48, 0xbb9c, v22
	v_fmac_f16_e32 v18, 0x3b9c, v58
	v_fmac_f16_e32 v11, -0.5, v64
	v_fmac_f16_e32 v17, -0.5, v75
	v_fmac_f16_e32 v10, 0xbb9c, v46
	v_sub_f16_e32 v63, v42, v37
	v_sub_f16_e32 v74, v30, v29
	;; [unrolled: 1-line block ×3, first 2 shown]
	v_add_f16_e32 v32, v32, v62
	v_fmac_f16_e32 v68, 0x34f2, v12
	v_fmac_f16_e32 v43, 0x34f2, v12
	v_add_f16_e32 v12, v21, v53
	v_fmac_f16_e32 v51, 0xb8b4, v45
	v_add_f16_e32 v21, v24, v26
	v_fmac_f16_e32 v52, 0x38b4, v22
	v_fmamk_f16 v24, v56, 0xbb9c, v50
	v_add_f16_e32 v28, v28, v29
	v_fmamk_f16 v29, v31, 0x3b9c, v59
	v_sub_f16_e32 v69, v37, v42
	v_fmac_f16_e32 v34, 0x38b4, v54
	v_fmac_f16_e32 v39, 0xb8b4, v66
	;; [unrolled: 1-line block ×5, first 2 shown]
	v_add_f16_e32 v22, v33, v37
	v_fmamk_f16 v26, v57, 0x3b9c, v11
	v_fmamk_f16 v33, v72, 0xbb9c, v17
	v_fmac_f16_e32 v11, 0xbb9c, v57
	v_fmac_f16_e32 v17, 0x3b9c, v72
	;; [unrolled: 1-line block ×7, first 2 shown]
	v_add_f16_e32 v54, v60, v63
	v_add_f16_e32 v60, v73, v74
	v_fmac_f16_e32 v67, 0x34f2, v38
	v_fmac_f16_e32 v35, 0xb8b4, v46
	;; [unrolled: 1-line block ×3, first 2 shown]
	v_pack_b32_f16 v19, v32, v19
	v_fmac_f16_e32 v51, 0x34f2, v47
	v_fmac_f16_e32 v52, 0x34f2, v23
	;; [unrolled: 1-line block ×4, first 2 shown]
	v_pack_b32_f16 v12, v12, v21
	v_add_f16_e32 v55, v65, v69
	v_add_f16_e32 v27, v27, v76
	v_fmac_f16_e32 v34, 0x34f2, v36
	v_fmac_f16_e32 v39, 0x34f2, v40
	;; [unrolled: 1-line block ×14, first 2 shown]
	v_add_f16_e32 v22, v22, v42
	v_add_f16_e32 v23, v28, v30
	v_fmac_f16_e32 v35, 0x34f2, v44
	v_fmac_f16_e32 v25, 0x34f2, v49
	v_pack_b32_f16 v28, v67, v68
	v_fmac_f16_e32 v24, 0x34f2, v54
	v_fmac_f16_e32 v29, 0x34f2, v60
	ds_store_2addr_b32 v0, v19, v12 offset1:112
	v_pack_b32_f16 v12, v51, v52
	v_fmac_f16_e32 v9, 0x34f2, v38
	v_pack_b32_f16 v30, v34, v39
	v_fmac_f16_e32 v26, 0x34f2, v55
	v_fmac_f16_e32 v33, 0x34f2, v27
	v_pack_b32_f16 v19, v41, v48
	v_fmac_f16_e32 v11, 0x34f2, v55
	v_fmac_f16_e32 v17, 0x34f2, v27
	;; [unrolled: 1-line block ×4, first 2 shown]
	v_pack_b32_f16 v20, v61, v20
	v_pack_b32_f16 v10, v10, v18
	;; [unrolled: 1-line block ×4, first 2 shown]
	ds_store_2addr_b32 v15, v28, v12 offset0:32 offset1:144
	ds_store_2addr_b32 v16, v30, v19 offset0:64 offset1:176
	v_pack_b32_f16 v12, v24, v29
	v_pack_b32_f16 v9, v9, v43
	;; [unrolled: 1-line block ×5, first 2 shown]
	ds_store_2addr_b32 v4, v18, v20 offset0:96 offset1:208
	ds_store_2addr_b32 v14, v21, v12 offset0:64 offset1:176
	;; [unrolled: 1-line block ×4, first 2 shown]
	ds_store_b32 v0, v16 offset:6272
	global_wb scope:SCOPE_SE
	s_wait_dscnt 0x0
	s_barrier_signal -1
	s_barrier_wait -1
	global_inv scope:SCOPE_SE
	s_and_saveexec_b32 s0, vcc_lo
	s_cbranch_execz .LBB0_41
; %bb.40:
	v_mul_lo_u32 v0, s3, v5
	v_mul_lo_u32 v4, s2, v6
	v_mad_co_u64_u32 v[5:6], null, s2, v5, 0
	v_lshl_add_u32 v31, v3, 2, 0
	v_add_nc_u32_e32 v7, 0x70, v3
	ds_load_2addr_b32 v[9:10], v31 offset1:112
	v_add3_u32 v6, v6, v4, v0
	v_mov_b32_e32 v4, v8
	v_lshlrev_b64_e32 v[0:1], 2, v[1:2]
	v_lshlrev_b64_e32 v[13:14], 2, v[7:8]
	v_add_nc_u32_e32 v7, 0xe0, v3
	v_lshlrev_b64_e32 v[5:6], 2, v[5:6]
	v_lshlrev_b64_e32 v[11:12], 2, v[3:4]
	v_add_nc_u32_e32 v2, 0x200, v31
	s_delay_alu instid0(VALU_DEP_3) | instskip(SKIP_1) | instid1(VALU_DEP_4)
	v_add_co_u32 v15, vcc_lo, s6, v5
	s_wait_alu 0xfffd
	v_add_co_ci_u32_e32 v6, vcc_lo, s7, v6, vcc_lo
	v_lshlrev_b64_e32 v[4:5], 2, v[7:8]
	v_add_nc_u32_e32 v7, 0x150, v3
	v_add_co_u32 v32, vcc_lo, v15, v0
	s_wait_alu 0xfffd
	v_add_co_ci_u32_e32 v33, vcc_lo, v6, v1, vcc_lo
	s_delay_alu instid0(VALU_DEP_3)
	v_lshlrev_b64_e32 v[15:16], 2, v[7:8]
	v_add_nc_u32_e32 v7, 0x1c0, v3
	v_add_co_u32 v0, vcc_lo, v32, v11
	s_wait_alu 0xfffd
	v_add_co_ci_u32_e32 v1, vcc_lo, v33, v12, vcc_lo
	v_add_co_u32 v11, vcc_lo, v32, v13
	v_lshlrev_b64_e32 v[17:18], 2, v[7:8]
	v_add_nc_u32_e32 v7, 0x230, v3
	s_wait_alu 0xfffd
	v_add_co_ci_u32_e32 v12, vcc_lo, v33, v14, vcc_lo
	ds_load_2addr_b32 v[13:14], v2 offset0:96 offset1:208
	v_add_nc_u32_e32 v2, 0x600, v31
	v_lshlrev_b64_e32 v[21:22], 2, v[7:8]
	v_add_nc_u32_e32 v7, 0x2a0, v3
	v_add_co_u32 v4, vcc_lo, v32, v4
	ds_load_2addr_b32 v[19:20], v2 offset0:64 offset1:176
	v_add_nc_u32_e32 v2, 0xa00, v31
	s_wait_alu 0xfffd
	v_add_co_ci_u32_e32 v5, vcc_lo, v33, v5, vcc_lo
	v_lshlrev_b64_e32 v[23:24], 2, v[7:8]
	v_add_nc_u32_e32 v7, 0x310, v3
	v_add_co_u32 v15, vcc_lo, v32, v15
	ds_load_2addr_b32 v[25:26], v2 offset0:32 offset1:144
	s_wait_alu 0xfffd
	v_add_co_ci_u32_e32 v16, vcc_lo, v33, v16, vcc_lo
	v_add_co_u32 v17, vcc_lo, v32, v17
	v_lshlrev_b64_e32 v[27:28], 2, v[7:8]
	v_add_nc_u32_e32 v7, 0x380, v3
	s_wait_alu 0xfffd
	v_add_co_ci_u32_e32 v18, vcc_lo, v33, v18, vcc_lo
	v_add_co_u32 v21, vcc_lo, v32, v21
	s_wait_alu 0xfffd
	v_add_co_ci_u32_e32 v22, vcc_lo, v33, v22, vcc_lo
	v_add_co_u32 v23, vcc_lo, v32, v23
	v_lshlrev_b64_e32 v[29:30], 2, v[7:8]
	v_add_nc_u32_e32 v7, 0x3f0, v3
	s_wait_alu 0xfffd
	v_add_co_ci_u32_e32 v24, vcc_lo, v33, v24, vcc_lo
	v_add_co_u32 v27, vcc_lo, v32, v27
	s_wait_alu 0xfffd
	v_add_co_ci_u32_e32 v28, vcc_lo, v33, v28, vcc_lo
	s_wait_dscnt 0x3
	s_clause 0x1
	global_store_b32 v[0:1], v9, off
	global_store_b32 v[11:12], v10, off
	s_wait_dscnt 0x2
	s_clause 0x1
	global_store_b32 v[4:5], v13, off
	global_store_b32 v[15:16], v14, off
	;; [unrolled: 4-line block ×4, first 2 shown]
	v_lshlrev_b64_e32 v[4:5], 2, v[7:8]
	v_add_nc_u32_e32 v7, 0x460, v3
	v_add_nc_u32_e32 v2, 0xc00, v31
	v_add_co_u32 v9, vcc_lo, v32, v29
	s_wait_alu 0xfffd
	v_add_co_ci_u32_e32 v10, vcc_lo, v33, v30, vcc_lo
	v_lshlrev_b64_e32 v[11:12], 2, v[7:8]
	v_add_nc_u32_e32 v7, 0x4d0, v3
	ds_load_2addr_b32 v[0:1], v2 offset0:128 offset1:240
	v_add_nc_u32_e32 v2, 0x1000, v31
	v_add_co_u32 v4, vcc_lo, v32, v4
	v_lshlrev_b64_e32 v[15:16], 2, v[7:8]
	v_add_nc_u32_e32 v7, 0x540, v3
	ds_load_2addr_b32 v[13:14], v2 offset0:96 offset1:208
	v_add_nc_u32_e32 v2, 0x1400, v31
	s_wait_alu 0xfffd
	v_add_co_ci_u32_e32 v5, vcc_lo, v33, v5, vcc_lo
	v_lshlrev_b64_e32 v[17:18], 2, v[7:8]
	v_add_nc_u32_e32 v7, 0x5b0, v3
	ds_load_2addr_b32 v[19:20], v2 offset0:64 offset1:176
	v_add_co_u32 v11, vcc_lo, v32, v11
	ds_load_b32 v23, v31 offset:6272
	v_lshlrev_b64_e32 v[21:22], 2, v[7:8]
	v_add_nc_u32_e32 v7, 0x620, v3
	s_wait_alu 0xfffd
	v_add_co_ci_u32_e32 v12, vcc_lo, v33, v12, vcc_lo
	v_add_co_u32 v15, vcc_lo, v32, v15
	s_wait_alu 0xfffd
	v_add_co_ci_u32_e32 v16, vcc_lo, v33, v16, vcc_lo
	v_add_co_u32 v2, vcc_lo, v32, v17
	v_lshlrev_b64_e32 v[6:7], 2, v[7:8]
	s_wait_alu 0xfffd
	v_add_co_ci_u32_e32 v3, vcc_lo, v33, v18, vcc_lo
	v_add_co_u32 v17, vcc_lo, v32, v21
	s_wait_alu 0xfffd
	v_add_co_ci_u32_e32 v18, vcc_lo, v33, v22, vcc_lo
	v_add_co_u32 v6, vcc_lo, v32, v6
	s_wait_alu 0xfffd
	v_add_co_ci_u32_e32 v7, vcc_lo, v33, v7, vcc_lo
	s_wait_dscnt 0x3
	s_clause 0x1
	global_store_b32 v[9:10], v0, off
	global_store_b32 v[4:5], v1, off
	s_wait_dscnt 0x2
	s_clause 0x1
	global_store_b32 v[11:12], v13, off
	global_store_b32 v[15:16], v14, off
	;; [unrolled: 4-line block ×3, first 2 shown]
	s_wait_dscnt 0x0
	global_store_b32 v[6:7], v23, off
.LBB0_41:
	s_nop 0
	s_sendmsg sendmsg(MSG_DEALLOC_VGPRS)
	s_endpgm
	.section	.rodata,"a",@progbits
	.p2align	6, 0x0
	.amdhsa_kernel fft_rtc_back_len1680_factors_2_2_2_2_3_7_5_wgs_112_tpt_112_halfLds_half_op_CI_CI_unitstride_sbrr_C2R_dirReg
		.amdhsa_group_segment_fixed_size 0
		.amdhsa_private_segment_fixed_size 0
		.amdhsa_kernarg_size 104
		.amdhsa_user_sgpr_count 2
		.amdhsa_user_sgpr_dispatch_ptr 0
		.amdhsa_user_sgpr_queue_ptr 0
		.amdhsa_user_sgpr_kernarg_segment_ptr 1
		.amdhsa_user_sgpr_dispatch_id 0
		.amdhsa_user_sgpr_private_segment_size 0
		.amdhsa_wavefront_size32 1
		.amdhsa_uses_dynamic_stack 0
		.amdhsa_enable_private_segment 0
		.amdhsa_system_sgpr_workgroup_id_x 1
		.amdhsa_system_sgpr_workgroup_id_y 0
		.amdhsa_system_sgpr_workgroup_id_z 0
		.amdhsa_system_sgpr_workgroup_info 0
		.amdhsa_system_vgpr_workitem_id 0
		.amdhsa_next_free_vgpr 89
		.amdhsa_next_free_sgpr 39
		.amdhsa_reserve_vcc 1
		.amdhsa_float_round_mode_32 0
		.amdhsa_float_round_mode_16_64 0
		.amdhsa_float_denorm_mode_32 3
		.amdhsa_float_denorm_mode_16_64 3
		.amdhsa_fp16_overflow 0
		.amdhsa_workgroup_processor_mode 1
		.amdhsa_memory_ordered 1
		.amdhsa_forward_progress 0
		.amdhsa_round_robin_scheduling 0
		.amdhsa_exception_fp_ieee_invalid_op 0
		.amdhsa_exception_fp_denorm_src 0
		.amdhsa_exception_fp_ieee_div_zero 0
		.amdhsa_exception_fp_ieee_overflow 0
		.amdhsa_exception_fp_ieee_underflow 0
		.amdhsa_exception_fp_ieee_inexact 0
		.amdhsa_exception_int_div_zero 0
	.end_amdhsa_kernel
	.text
.Lfunc_end0:
	.size	fft_rtc_back_len1680_factors_2_2_2_2_3_7_5_wgs_112_tpt_112_halfLds_half_op_CI_CI_unitstride_sbrr_C2R_dirReg, .Lfunc_end0-fft_rtc_back_len1680_factors_2_2_2_2_3_7_5_wgs_112_tpt_112_halfLds_half_op_CI_CI_unitstride_sbrr_C2R_dirReg
                                        ; -- End function
	.section	.AMDGPU.csdata,"",@progbits
; Kernel info:
; codeLenInByte = 13604
; NumSgprs: 41
; NumVgprs: 89
; ScratchSize: 0
; MemoryBound: 0
; FloatMode: 240
; IeeeMode: 1
; LDSByteSize: 0 bytes/workgroup (compile time only)
; SGPRBlocks: 5
; VGPRBlocks: 11
; NumSGPRsForWavesPerEU: 41
; NumVGPRsForWavesPerEU: 89
; Occupancy: 16
; WaveLimiterHint : 1
; COMPUTE_PGM_RSRC2:SCRATCH_EN: 0
; COMPUTE_PGM_RSRC2:USER_SGPR: 2
; COMPUTE_PGM_RSRC2:TRAP_HANDLER: 0
; COMPUTE_PGM_RSRC2:TGID_X_EN: 1
; COMPUTE_PGM_RSRC2:TGID_Y_EN: 0
; COMPUTE_PGM_RSRC2:TGID_Z_EN: 0
; COMPUTE_PGM_RSRC2:TIDIG_COMP_CNT: 0
	.text
	.p2alignl 7, 3214868480
	.fill 96, 4, 3214868480
	.type	__hip_cuid_11706b01738015fc,@object ; @__hip_cuid_11706b01738015fc
	.section	.bss,"aw",@nobits
	.globl	__hip_cuid_11706b01738015fc
__hip_cuid_11706b01738015fc:
	.byte	0                               ; 0x0
	.size	__hip_cuid_11706b01738015fc, 1

	.ident	"AMD clang version 19.0.0git (https://github.com/RadeonOpenCompute/llvm-project roc-6.4.0 25133 c7fe45cf4b819c5991fe208aaa96edf142730f1d)"
	.section	".note.GNU-stack","",@progbits
	.addrsig
	.addrsig_sym __hip_cuid_11706b01738015fc
	.amdgpu_metadata
---
amdhsa.kernels:
  - .args:
      - .actual_access:  read_only
        .address_space:  global
        .offset:         0
        .size:           8
        .value_kind:     global_buffer
      - .offset:         8
        .size:           8
        .value_kind:     by_value
      - .actual_access:  read_only
        .address_space:  global
        .offset:         16
        .size:           8
        .value_kind:     global_buffer
      - .actual_access:  read_only
        .address_space:  global
        .offset:         24
        .size:           8
        .value_kind:     global_buffer
      - .actual_access:  read_only
        .address_space:  global
        .offset:         32
        .size:           8
        .value_kind:     global_buffer
      - .offset:         40
        .size:           8
        .value_kind:     by_value
      - .actual_access:  read_only
        .address_space:  global
        .offset:         48
        .size:           8
        .value_kind:     global_buffer
      - .actual_access:  read_only
        .address_space:  global
        .offset:         56
        .size:           8
        .value_kind:     global_buffer
      - .offset:         64
        .size:           4
        .value_kind:     by_value
      - .actual_access:  read_only
        .address_space:  global
        .offset:         72
        .size:           8
        .value_kind:     global_buffer
      - .actual_access:  read_only
        .address_space:  global
        .offset:         80
        .size:           8
        .value_kind:     global_buffer
      - .actual_access:  read_only
        .address_space:  global
        .offset:         88
        .size:           8
        .value_kind:     global_buffer
      - .actual_access:  write_only
        .address_space:  global
        .offset:         96
        .size:           8
        .value_kind:     global_buffer
    .group_segment_fixed_size: 0
    .kernarg_segment_align: 8
    .kernarg_segment_size: 104
    .language:       OpenCL C
    .language_version:
      - 2
      - 0
    .max_flat_workgroup_size: 112
    .name:           fft_rtc_back_len1680_factors_2_2_2_2_3_7_5_wgs_112_tpt_112_halfLds_half_op_CI_CI_unitstride_sbrr_C2R_dirReg
    .private_segment_fixed_size: 0
    .sgpr_count:     41
    .sgpr_spill_count: 0
    .symbol:         fft_rtc_back_len1680_factors_2_2_2_2_3_7_5_wgs_112_tpt_112_halfLds_half_op_CI_CI_unitstride_sbrr_C2R_dirReg.kd
    .uniform_work_group_size: 1
    .uses_dynamic_stack: false
    .vgpr_count:     89
    .vgpr_spill_count: 0
    .wavefront_size: 32
    .workgroup_processor_mode: 1
amdhsa.target:   amdgcn-amd-amdhsa--gfx1201
amdhsa.version:
  - 1
  - 2
...

	.end_amdgpu_metadata
